;; amdgpu-corpus repo=ROCm/rocFFT kind=compiled arch=gfx1201 opt=O3
	.text
	.amdgcn_target "amdgcn-amd-amdhsa--gfx1201"
	.amdhsa_code_object_version 6
	.protected	fft_rtc_back_len1190_factors_17_2_5_7_wgs_255_tpt_85_halfLds_sp_op_CI_CI_unitstride_sbrr_R2C_dirReg ; -- Begin function fft_rtc_back_len1190_factors_17_2_5_7_wgs_255_tpt_85_halfLds_sp_op_CI_CI_unitstride_sbrr_R2C_dirReg
	.globl	fft_rtc_back_len1190_factors_17_2_5_7_wgs_255_tpt_85_halfLds_sp_op_CI_CI_unitstride_sbrr_R2C_dirReg
	.p2align	8
	.type	fft_rtc_back_len1190_factors_17_2_5_7_wgs_255_tpt_85_halfLds_sp_op_CI_CI_unitstride_sbrr_R2C_dirReg,@function
fft_rtc_back_len1190_factors_17_2_5_7_wgs_255_tpt_85_halfLds_sp_op_CI_CI_unitstride_sbrr_R2C_dirReg: ; @fft_rtc_back_len1190_factors_17_2_5_7_wgs_255_tpt_85_halfLds_sp_op_CI_CI_unitstride_sbrr_R2C_dirReg
; %bb.0:
	s_load_b128 s[8:11], s[0:1], 0x0
	v_mul_u32_u24_e32 v1, 0x304, v0
	s_clause 0x1
	s_load_b128 s[4:7], s[0:1], 0x58
	s_load_b128 s[12:15], s[0:1], 0x18
	v_mov_b32_e32 v5, 0
	v_lshrrev_b32_e32 v3, 16, v1
	v_mov_b32_e32 v1, 0
	v_mov_b32_e32 v2, 0
	s_delay_alu instid0(VALU_DEP_3) | instskip(NEXT) | instid1(VALU_DEP_2)
	v_mad_co_u64_u32 v[3:4], null, ttmp9, 3, v[3:4]
	v_dual_mov_b32 v4, v5 :: v_dual_mov_b32 v33, v2
	s_delay_alu instid0(VALU_DEP_1) | instskip(NEXT) | instid1(VALU_DEP_3)
	v_dual_mov_b32 v32, v1 :: v_dual_mov_b32 v37, v4
	v_mov_b32_e32 v36, v3
	s_wait_kmcnt 0x0
	v_cmp_lt_u64_e64 s2, s[10:11], 2
	s_delay_alu instid0(VALU_DEP_1)
	s_and_b32 vcc_lo, exec_lo, s2
	s_cbranch_vccnz .LBB0_8
; %bb.1:
	s_load_b64 s[2:3], s[0:1], 0x10
	v_dual_mov_b32 v1, 0 :: v_dual_mov_b32 v8, v4
	v_dual_mov_b32 v2, 0 :: v_dual_mov_b32 v7, v3
	s_add_nc_u64 s[16:17], s[14:15], 8
	s_add_nc_u64 s[18:19], s[12:13], 8
	s_mov_b64 s[20:21], 1
	s_delay_alu instid0(VALU_DEP_1)
	v_dual_mov_b32 v33, v2 :: v_dual_mov_b32 v32, v1
	s_wait_kmcnt 0x0
	s_add_nc_u64 s[22:23], s[2:3], 8
	s_mov_b32 s3, 0
.LBB0_2:                                ; =>This Inner Loop Header: Depth=1
	s_load_b64 s[24:25], s[22:23], 0x0
                                        ; implicit-def: $vgpr36_vgpr37
	s_mov_b32 s2, exec_lo
	s_wait_kmcnt 0x0
	v_or_b32_e32 v6, s25, v8
	s_delay_alu instid0(VALU_DEP_1)
	v_cmpx_ne_u64_e32 0, v[5:6]
	s_wait_alu 0xfffe
	s_xor_b32 s26, exec_lo, s2
	s_cbranch_execz .LBB0_4
; %bb.3:                                ;   in Loop: Header=BB0_2 Depth=1
	s_cvt_f32_u32 s2, s24
	s_cvt_f32_u32 s27, s25
	s_sub_nc_u64 s[30:31], 0, s[24:25]
	s_wait_alu 0xfffe
	s_delay_alu instid0(SALU_CYCLE_1) | instskip(SKIP_1) | instid1(SALU_CYCLE_2)
	s_fmamk_f32 s2, s27, 0x4f800000, s2
	s_wait_alu 0xfffe
	v_s_rcp_f32 s2, s2
	s_delay_alu instid0(TRANS32_DEP_1) | instskip(SKIP_1) | instid1(SALU_CYCLE_2)
	s_mul_f32 s2, s2, 0x5f7ffffc
	s_wait_alu 0xfffe
	s_mul_f32 s27, s2, 0x2f800000
	s_wait_alu 0xfffe
	s_delay_alu instid0(SALU_CYCLE_2) | instskip(SKIP_1) | instid1(SALU_CYCLE_2)
	s_trunc_f32 s27, s27
	s_wait_alu 0xfffe
	s_fmamk_f32 s2, s27, 0xcf800000, s2
	s_cvt_u32_f32 s29, s27
	s_wait_alu 0xfffe
	s_delay_alu instid0(SALU_CYCLE_1) | instskip(SKIP_1) | instid1(SALU_CYCLE_2)
	s_cvt_u32_f32 s28, s2
	s_wait_alu 0xfffe
	s_mul_u64 s[34:35], s[30:31], s[28:29]
	s_wait_alu 0xfffe
	s_mul_hi_u32 s37, s28, s35
	s_mul_i32 s36, s28, s35
	s_mul_hi_u32 s2, s28, s34
	s_mul_i32 s33, s29, s34
	s_wait_alu 0xfffe
	s_add_nc_u64 s[36:37], s[2:3], s[36:37]
	s_mul_hi_u32 s27, s29, s34
	s_mul_hi_u32 s38, s29, s35
	s_add_co_u32 s2, s36, s33
	s_wait_alu 0xfffe
	s_add_co_ci_u32 s2, s37, s27
	s_mul_i32 s34, s29, s35
	s_add_co_ci_u32 s35, s38, 0
	s_wait_alu 0xfffe
	s_add_nc_u64 s[34:35], s[2:3], s[34:35]
	s_wait_alu 0xfffe
	v_add_co_u32 v4, s2, s28, s34
	s_delay_alu instid0(VALU_DEP_1) | instskip(SKIP_1) | instid1(VALU_DEP_1)
	s_cmp_lg_u32 s2, 0
	s_add_co_ci_u32 s29, s29, s35
	v_readfirstlane_b32 s28, v4
	s_wait_alu 0xfffe
	s_delay_alu instid0(VALU_DEP_1)
	s_mul_u64 s[30:31], s[30:31], s[28:29]
	s_wait_alu 0xfffe
	s_mul_hi_u32 s35, s28, s31
	s_mul_i32 s34, s28, s31
	s_mul_hi_u32 s2, s28, s30
	s_mul_i32 s33, s29, s30
	s_wait_alu 0xfffe
	s_add_nc_u64 s[34:35], s[2:3], s[34:35]
	s_mul_hi_u32 s27, s29, s30
	s_mul_hi_u32 s28, s29, s31
	s_wait_alu 0xfffe
	s_add_co_u32 s2, s34, s33
	s_add_co_ci_u32 s2, s35, s27
	s_mul_i32 s30, s29, s31
	s_add_co_ci_u32 s31, s28, 0
	s_wait_alu 0xfffe
	s_add_nc_u64 s[30:31], s[2:3], s[30:31]
	s_wait_alu 0xfffe
	v_add_co_u32 v4, s2, v4, s30
	s_delay_alu instid0(VALU_DEP_1) | instskip(SKIP_1) | instid1(VALU_DEP_1)
	s_cmp_lg_u32 s2, 0
	s_add_co_ci_u32 s2, s29, s31
	v_mul_hi_u32 v6, v7, v4
	s_wait_alu 0xfffe
	v_mad_co_u64_u32 v[9:10], null, v7, s2, 0
	v_mad_co_u64_u32 v[11:12], null, v8, v4, 0
	;; [unrolled: 1-line block ×3, first 2 shown]
	s_delay_alu instid0(VALU_DEP_3) | instskip(SKIP_1) | instid1(VALU_DEP_4)
	v_add_co_u32 v4, vcc_lo, v6, v9
	s_wait_alu 0xfffd
	v_add_co_ci_u32_e32 v6, vcc_lo, 0, v10, vcc_lo
	s_delay_alu instid0(VALU_DEP_2) | instskip(SKIP_1) | instid1(VALU_DEP_2)
	v_add_co_u32 v4, vcc_lo, v4, v11
	s_wait_alu 0xfffd
	v_add_co_ci_u32_e32 v4, vcc_lo, v6, v12, vcc_lo
	s_wait_alu 0xfffd
	v_add_co_ci_u32_e32 v6, vcc_lo, 0, v14, vcc_lo
	s_delay_alu instid0(VALU_DEP_2) | instskip(SKIP_1) | instid1(VALU_DEP_2)
	v_add_co_u32 v4, vcc_lo, v4, v13
	s_wait_alu 0xfffd
	v_add_co_ci_u32_e32 v6, vcc_lo, 0, v6, vcc_lo
	s_delay_alu instid0(VALU_DEP_2) | instskip(SKIP_1) | instid1(VALU_DEP_3)
	v_mul_lo_u32 v11, s25, v4
	v_mad_co_u64_u32 v[9:10], null, s24, v4, 0
	v_mul_lo_u32 v12, s24, v6
	s_delay_alu instid0(VALU_DEP_2) | instskip(NEXT) | instid1(VALU_DEP_2)
	v_sub_co_u32 v9, vcc_lo, v7, v9
	v_add3_u32 v10, v10, v12, v11
	s_delay_alu instid0(VALU_DEP_1) | instskip(SKIP_1) | instid1(VALU_DEP_1)
	v_sub_nc_u32_e32 v11, v8, v10
	s_wait_alu 0xfffd
	v_subrev_co_ci_u32_e64 v11, s2, s25, v11, vcc_lo
	v_add_co_u32 v12, s2, v4, 2
	s_wait_alu 0xf1ff
	v_add_co_ci_u32_e64 v13, s2, 0, v6, s2
	v_sub_co_u32 v14, s2, v9, s24
	v_sub_co_ci_u32_e32 v10, vcc_lo, v8, v10, vcc_lo
	s_wait_alu 0xf1ff
	v_subrev_co_ci_u32_e64 v11, s2, 0, v11, s2
	s_delay_alu instid0(VALU_DEP_3) | instskip(NEXT) | instid1(VALU_DEP_3)
	v_cmp_le_u32_e32 vcc_lo, s24, v14
	v_cmp_eq_u32_e64 s2, s25, v10
	s_wait_alu 0xfffd
	v_cndmask_b32_e64 v14, 0, -1, vcc_lo
	v_cmp_le_u32_e32 vcc_lo, s25, v11
	s_wait_alu 0xfffd
	v_cndmask_b32_e64 v15, 0, -1, vcc_lo
	v_cmp_le_u32_e32 vcc_lo, s24, v9
	;; [unrolled: 3-line block ×3, first 2 shown]
	s_wait_alu 0xfffd
	v_cndmask_b32_e64 v16, 0, -1, vcc_lo
	v_cmp_eq_u32_e32 vcc_lo, s25, v11
	s_wait_alu 0xf1ff
	s_delay_alu instid0(VALU_DEP_2)
	v_cndmask_b32_e64 v9, v16, v9, s2
	s_wait_alu 0xfffd
	v_cndmask_b32_e32 v11, v15, v14, vcc_lo
	v_add_co_u32 v14, vcc_lo, v4, 1
	s_wait_alu 0xfffd
	v_add_co_ci_u32_e32 v15, vcc_lo, 0, v6, vcc_lo
	s_delay_alu instid0(VALU_DEP_3) | instskip(SKIP_1) | instid1(VALU_DEP_2)
	v_cmp_ne_u32_e32 vcc_lo, 0, v11
	s_wait_alu 0xfffd
	v_dual_cndmask_b32 v10, v15, v13 :: v_dual_cndmask_b32 v11, v14, v12
	v_cmp_ne_u32_e32 vcc_lo, 0, v9
	s_wait_alu 0xfffd
	s_delay_alu instid0(VALU_DEP_2)
	v_dual_cndmask_b32 v37, v6, v10 :: v_dual_cndmask_b32 v36, v4, v11
.LBB0_4:                                ;   in Loop: Header=BB0_2 Depth=1
	s_wait_alu 0xfffe
	s_and_not1_saveexec_b32 s2, s26
	s_cbranch_execz .LBB0_6
; %bb.5:                                ;   in Loop: Header=BB0_2 Depth=1
	v_cvt_f32_u32_e32 v4, s24
	s_sub_co_i32 s26, 0, s24
	v_mov_b32_e32 v37, v5
	s_delay_alu instid0(VALU_DEP_2) | instskip(NEXT) | instid1(TRANS32_DEP_1)
	v_rcp_iflag_f32_e32 v4, v4
	v_mul_f32_e32 v4, 0x4f7ffffe, v4
	s_delay_alu instid0(VALU_DEP_1) | instskip(SKIP_1) | instid1(VALU_DEP_1)
	v_cvt_u32_f32_e32 v4, v4
	s_wait_alu 0xfffe
	v_mul_lo_u32 v6, s26, v4
	s_delay_alu instid0(VALU_DEP_1) | instskip(NEXT) | instid1(VALU_DEP_1)
	v_mul_hi_u32 v6, v4, v6
	v_add_nc_u32_e32 v4, v4, v6
	s_delay_alu instid0(VALU_DEP_1) | instskip(NEXT) | instid1(VALU_DEP_1)
	v_mul_hi_u32 v4, v7, v4
	v_mul_lo_u32 v6, v4, s24
	s_delay_alu instid0(VALU_DEP_1) | instskip(NEXT) | instid1(VALU_DEP_1)
	v_sub_nc_u32_e32 v6, v7, v6
	v_subrev_nc_u32_e32 v10, s24, v6
	v_cmp_le_u32_e32 vcc_lo, s24, v6
	s_wait_alu 0xfffd
	s_delay_alu instid0(VALU_DEP_2) | instskip(NEXT) | instid1(VALU_DEP_1)
	v_dual_cndmask_b32 v6, v6, v10 :: v_dual_add_nc_u32 v9, 1, v4
	v_cndmask_b32_e32 v4, v4, v9, vcc_lo
	s_delay_alu instid0(VALU_DEP_2) | instskip(NEXT) | instid1(VALU_DEP_2)
	v_cmp_le_u32_e32 vcc_lo, s24, v6
	v_add_nc_u32_e32 v9, 1, v4
	s_wait_alu 0xfffd
	s_delay_alu instid0(VALU_DEP_1)
	v_cndmask_b32_e32 v36, v4, v9, vcc_lo
.LBB0_6:                                ;   in Loop: Header=BB0_2 Depth=1
	s_wait_alu 0xfffe
	s_or_b32 exec_lo, exec_lo, s2
	v_mul_lo_u32 v4, v37, s24
	s_delay_alu instid0(VALU_DEP_2)
	v_mul_lo_u32 v6, v36, s25
	s_load_b64 s[26:27], s[18:19], 0x0
	v_mad_co_u64_u32 v[9:10], null, v36, s24, 0
	s_load_b64 s[24:25], s[16:17], 0x0
	s_add_nc_u64 s[20:21], s[20:21], 1
	s_add_nc_u64 s[16:17], s[16:17], 8
	s_wait_alu 0xfffe
	v_cmp_ge_u64_e64 s2, s[20:21], s[10:11]
	s_add_nc_u64 s[18:19], s[18:19], 8
	s_add_nc_u64 s[22:23], s[22:23], 8
	v_add3_u32 v4, v10, v6, v4
	v_sub_co_u32 v6, vcc_lo, v7, v9
	s_wait_alu 0xfffd
	s_delay_alu instid0(VALU_DEP_2) | instskip(SKIP_2) | instid1(VALU_DEP_1)
	v_sub_co_ci_u32_e32 v4, vcc_lo, v8, v4, vcc_lo
	s_and_b32 vcc_lo, exec_lo, s2
	s_wait_kmcnt 0x0
	v_mul_lo_u32 v7, s26, v4
	v_mul_lo_u32 v8, s27, v6
	v_mad_co_u64_u32 v[1:2], null, s26, v6, v[1:2]
	v_mul_lo_u32 v4, s24, v4
	v_mul_lo_u32 v9, s25, v6
	v_mad_co_u64_u32 v[32:33], null, s24, v6, v[32:33]
	s_delay_alu instid0(VALU_DEP_4) | instskip(NEXT) | instid1(VALU_DEP_2)
	v_add3_u32 v2, v8, v2, v7
	v_add3_u32 v33, v9, v33, v4
	s_wait_alu 0xfffe
	s_cbranch_vccnz .LBB0_8
; %bb.7:                                ;   in Loop: Header=BB0_2 Depth=1
	v_dual_mov_b32 v7, v36 :: v_dual_mov_b32 v8, v37
	s_branch .LBB0_2
.LBB0_8:
	s_load_b64 s[0:1], s[0:1], 0x28
	v_mul_hi_u32 v4, 0xaaaaaaab, v3
                                        ; implicit-def: $vgpr34
	s_delay_alu instid0(VALU_DEP_1) | instskip(NEXT) | instid1(VALU_DEP_1)
	v_lshrrev_b32_e32 v4, 1, v4
	v_lshl_add_u32 v5, v4, 1, v4
	v_mul_hi_u32 v4, 0x3030304, v0
	s_delay_alu instid0(VALU_DEP_2) | instskip(SKIP_3) | instid1(VALU_DEP_1)
	v_sub_nc_u32_e32 v3, v3, v5
	s_wait_kmcnt 0x0
	v_cmp_gt_u64_e32 vcc_lo, s[0:1], v[36:37]
	v_cmp_le_u64_e64 s0, s[0:1], v[36:37]
	s_and_saveexec_b32 s1, s0
	s_wait_alu 0xfffe
	s_xor_b32 s0, exec_lo, s1
; %bb.9:
	v_mul_u32_u24_e32 v1, 0x55, v4
                                        ; implicit-def: $vgpr4
	s_delay_alu instid0(VALU_DEP_1)
	v_sub_nc_u32_e32 v34, v0, v1
                                        ; implicit-def: $vgpr0
                                        ; implicit-def: $vgpr1_vgpr2
; %bb.10:
	s_wait_alu 0xfffe
	s_or_saveexec_b32 s1, s0
	v_mul_u32_u24_e32 v45, 0x4a7, v3
	s_lshl_b64 s[2:3], s[10:11], 3
	s_delay_alu instid0(VALU_DEP_1)
	v_lshlrev_b32_e32 v47, 3, v45
	s_wait_alu 0xfffe
	s_xor_b32 exec_lo, exec_lo, s1
	s_cbranch_execz .LBB0_12
; %bb.11:
	s_add_nc_u64 s[10:11], s[12:13], s[2:3]
	v_lshlrev_b64_e32 v[1:2], 3, v[1:2]
	s_load_b64 s[10:11], s[10:11], 0x0
	s_wait_kmcnt 0x0
	v_mul_lo_u32 v3, s11, v36
	v_mul_lo_u32 v7, s10, v37
	v_mad_co_u64_u32 v[5:6], null, s10, v36, 0
	s_delay_alu instid0(VALU_DEP_1) | instskip(SKIP_1) | instid1(VALU_DEP_2)
	v_add3_u32 v6, v6, v7, v3
	v_mul_u32_u24_e32 v7, 0x55, v4
	v_lshlrev_b64_e32 v[3:4], 3, v[5:6]
	s_delay_alu instid0(VALU_DEP_2) | instskip(NEXT) | instid1(VALU_DEP_1)
	v_sub_nc_u32_e32 v34, v0, v7
	v_lshlrev_b32_e32 v28, 3, v34
	s_delay_alu instid0(VALU_DEP_3) | instskip(SKIP_1) | instid1(VALU_DEP_4)
	v_add_co_u32 v0, s0, s4, v3
	s_wait_alu 0xf1ff
	v_add_co_ci_u32_e64 v3, s0, s5, v4, s0
	s_delay_alu instid0(VALU_DEP_2) | instskip(SKIP_1) | instid1(VALU_DEP_2)
	v_add_co_u32 v0, s0, v0, v1
	s_wait_alu 0xf1ff
	v_add_co_ci_u32_e64 v1, s0, v3, v2, s0
	s_delay_alu instid0(VALU_DEP_2) | instskip(SKIP_1) | instid1(VALU_DEP_2)
	v_add_co_u32 v0, s0, v0, v28
	s_wait_alu 0xf1ff
	v_add_co_ci_u32_e64 v1, s0, 0, v1, s0
	s_clause 0xd
	global_load_b64 v[2:3], v[0:1], off
	global_load_b64 v[4:5], v[0:1], off offset:680
	global_load_b64 v[6:7], v[0:1], off offset:1360
	global_load_b64 v[8:9], v[0:1], off offset:2040
	global_load_b64 v[10:11], v[0:1], off offset:2720
	global_load_b64 v[12:13], v[0:1], off offset:3400
	global_load_b64 v[14:15], v[0:1], off offset:4080
	global_load_b64 v[16:17], v[0:1], off offset:4760
	global_load_b64 v[18:19], v[0:1], off offset:5440
	global_load_b64 v[20:21], v[0:1], off offset:6120
	global_load_b64 v[22:23], v[0:1], off offset:6800
	global_load_b64 v[24:25], v[0:1], off offset:7480
	global_load_b64 v[26:27], v[0:1], off offset:8160
	global_load_b64 v[0:1], v[0:1], off offset:8840
	v_add3_u32 v28, 0, v47, v28
	s_delay_alu instid0(VALU_DEP_1)
	v_add_nc_u32_e32 v29, 0x800, v28
	v_add_nc_u32_e32 v30, 0xc00, v28
	;; [unrolled: 1-line block ×5, first 2 shown]
	s_wait_loadcnt 0xc
	ds_store_2addr_b64 v28, v[2:3], v[4:5] offset1:85
	s_wait_loadcnt 0xa
	ds_store_2addr_b64 v28, v[6:7], v[8:9] offset0:170 offset1:255
	s_wait_loadcnt 0x8
	ds_store_2addr_b64 v29, v[10:11], v[12:13] offset0:84 offset1:169
	;; [unrolled: 2-line block ×6, first 2 shown]
.LBB0_12:
	s_or_b32 exec_lo, exec_lo, s1
	v_lshlrev_b32_e32 v35, 3, v34
	global_wb scope:SCOPE_SE
	s_wait_dscnt 0x0
	s_barrier_signal -1
	s_barrier_wait -1
	global_inv scope:SCOPE_SE
	v_add_nc_u32_e32 v46, 0, v35
	s_add_nc_u64 s[2:3], s[14:15], s[2:3]
	s_mov_b32 s1, exec_lo
	s_delay_alu instid0(VALU_DEP_1) | instskip(NEXT) | instid1(VALU_DEP_1)
	v_add_nc_u32_e32 v44, v46, v47
	v_add_nc_u32_e32 v0, 0x2000, v44
	ds_load_2addr_b64 v[28:31], v44 offset0:70 offset1:140
	ds_load_2addr_b64 v[0:3], v0 offset0:26 offset1:96
	s_wait_dscnt 0x0
	v_sub_f32_e32 v69, v29, v3
	v_sub_f32_e32 v61, v28, v2
	v_dual_sub_f32 v70, v31, v1 :: v_dual_add_nc_u32 v51, 0x400, v44
	v_dual_add_f32 v53, v0, v30 :: v_dual_add_nc_u32 v48, 0x1800, v44
	ds_load_2addr_b64 v[24:27], v51 offset0:82 offset1:152
	ds_load_2addr_b64 v[4:7], v48 offset0:142 offset1:212
	v_add_nc_u32_e32 v42, 0, v47
	v_add_nc_u32_e32 v49, 0x800, v44
	v_add_f32_e32 v52, v2, v28
	v_dual_add_f32 v77, v1, v31 :: v_dual_add_nc_u32 v12, 0xc00, v44
	v_dual_add_f32 v75, v3, v29 :: v_dual_add_nc_u32 v50, 0x1000, v44
	v_dual_sub_f32 v54, v30, v0 :: v_dual_mul_f32 v93, 0xbf65296c, v69
	s_delay_alu instid0(VALU_DEP_3) | instskip(NEXT) | instid1(VALU_DEP_2)
	v_mul_f32_e32 v97, 0xbf1a4643, v77
	v_fma_f32 v38, 0x3ee437d1, v52, -v93
	s_wait_dscnt 0x0
	v_add_f32_e32 v57, v4, v26
	v_add_f32_e32 v55, v6, v24
	v_dual_sub_f32 v56, v24, v6 :: v_dual_add_nc_u32 v43, v42, v35
	v_dual_add_f32 v78, v7, v25 :: v_dual_sub_f32 v71, v25, v7
	ds_load_2addr_b64 v[20:23], v49 offset0:94 offset1:164
	ds_load_2addr_b64 v[8:11], v48 offset0:2 offset1:72
	ds_load_b64 v[40:41], v43
	ds_load_2addr_b64 v[16:19], v12 offset0:106 offset1:176
	ds_load_2addr_b64 v[12:15], v50 offset0:118 offset1:188
	v_mul_f32_e32 v98, 0x3ee437d1, v75
	v_dual_mul_f32 v92, 0xbf4c4adb, v70 :: v_dual_fmamk_f32 v63, v54, 0xbf4c4adb, v97
	v_sub_f32_e32 v72, v27, v5
	v_mul_f32_e32 v88, 0x3e3c28d5, v71
	v_dual_add_f32 v79, v5, v27 :: v_dual_sub_f32 v58, v26, v4
	s_delay_alu instid0(VALU_DEP_4)
	v_fma_f32 v62, 0xbf1a4643, v53, -v92
	global_wb scope:SCOPE_SE
	s_wait_dscnt 0x0
	v_fma_f32 v64, 0xbf7ba420, v55, -v88
	v_mul_f32_e32 v90, 0xbe8c1d8e, v79
	s_barrier_signal -1
	s_barrier_wait -1
	global_inv scope:SCOPE_SE
	v_sub_f32_e32 v60, v20, v10
	v_dual_sub_f32 v68, v21, v11 :: v_dual_sub_f32 v73, v23, v9
	v_dual_fmamk_f32 v39, v61, 0xbf65296c, v98 :: v_dual_add_f32 v38, v40, v38
	v_dual_add_f32 v59, v10, v20 :: v_dual_add_f32 v76, v11, v21
	v_mul_f32_e32 v85, 0x3f763a35, v72
	s_delay_alu instid0(VALU_DEP_3) | instskip(NEXT) | instid1(VALU_DEP_3)
	v_dual_mul_f32 v94, 0xbf7ba420, v78 :: v_dual_add_f32 v39, v41, v39
	v_dual_add_f32 v38, v62, v38 :: v_dual_mul_f32 v91, 0x3f3d2fb0, v76
	v_dual_mul_f32 v84, 0x3f2c7751, v68 :: v_dual_add_f32 v83, v15, v17
	s_delay_alu instid0(VALU_DEP_3) | instskip(SKIP_1) | instid1(VALU_DEP_4)
	v_add_f32_e32 v39, v63, v39
	v_fma_f32 v63, 0xbe8c1d8e, v57, -v85
	v_add_f32_e32 v38, v64, v38
	s_delay_alu instid0(VALU_DEP_4) | instskip(SKIP_2) | instid1(VALU_DEP_4)
	v_fma_f32 v65, 0x3f3d2fb0, v59, -v84
	v_fmamk_f32 v64, v58, 0x3f763a35, v90
	v_mul_f32_e32 v96, 0x3dbcf732, v83
	v_dual_mul_f32 v87, 0xbeb8f4ab, v73 :: v_dual_add_f32 v38, v63, v38
	v_fmamk_f32 v63, v60, 0x3f2c7751, v91
	v_dual_fmamk_f32 v62, v56, 0x3e3c28d5, v94 :: v_dual_sub_f32 v67, v18, v12
	v_add_f32_e32 v81, v13, v19
	s_delay_alu instid0(VALU_DEP_2) | instskip(NEXT) | instid1(VALU_DEP_2)
	v_dual_add_f32 v38, v65, v38 :: v_dual_add_f32 v39, v62, v39
	v_dual_add_f32 v62, v8, v22 :: v_dual_mul_f32 v95, 0xbf59a7d5, v81
	s_delay_alu instid0(VALU_DEP_1) | instskip(NEXT) | instid1(VALU_DEP_1)
	v_fma_f32 v65, 0x3f6eb680, v62, -v87
	v_add_f32_e32 v38, v65, v38
	v_sub_f32_e32 v65, v16, v14
	v_dual_add_f32 v39, v64, v39 :: v_dual_add_f32 v64, v14, v16
	s_delay_alu instid0(VALU_DEP_2) | instskip(SKIP_1) | instid1(VALU_DEP_3)
	v_dual_sub_f32 v80, v19, v13 :: v_dual_fmamk_f32 v101, v65, 0xbf7ee86f, v96
	v_add_f32_e32 v82, v9, v23
	v_add_f32_e32 v39, v63, v39
	s_delay_alu instid0(VALU_DEP_3) | instskip(SKIP_1) | instid1(VALU_DEP_4)
	v_mul_f32_e32 v89, 0xbf06c442, v80
	v_dual_sub_f32 v63, v22, v8 :: v_dual_sub_f32 v74, v17, v15
	v_mul_f32_e32 v99, 0x3f6eb680, v82
	s_delay_alu instid0(VALU_DEP_2) | instskip(NEXT) | instid1(VALU_DEP_2)
	v_mul_f32_e32 v86, 0xbf7ee86f, v74
	v_fmamk_f32 v66, v63, 0xbeb8f4ab, v99
	s_delay_alu instid0(VALU_DEP_2) | instskip(NEXT) | instid1(VALU_DEP_2)
	v_fma_f32 v100, 0x3dbcf732, v64, -v86
	v_dual_add_f32 v39, v66, v39 :: v_dual_add_f32 v66, v12, v18
	s_delay_alu instid0(VALU_DEP_1) | instskip(SKIP_1) | instid1(VALU_DEP_3)
	v_dual_add_f32 v38, v100, v38 :: v_dual_add_f32 v39, v101, v39
	v_fmamk_f32 v101, v67, 0xbf06c442, v95
	v_fma_f32 v100, 0xbf59a7d5, v66, -v89
	s_delay_alu instid0(VALU_DEP_1)
	v_dual_add_f32 v39, v101, v39 :: v_dual_add_f32 v38, v100, v38
	v_cmpx_gt_u32_e32 0x46, v34
	s_cbranch_execz .LBB0_14
; %bb.13:
	v_mul_f32_e32 v112, 0xbf4c4adb, v69
	v_dual_mul_f32 v110, 0x3f763a35, v70 :: v_dual_add_f32 v29, v41, v29
	v_mul_f32_e32 v111, 0xbf4c4adb, v61
	v_dual_mul_f32 v108, 0xbeb8f4ab, v56 :: v_dual_mul_f32 v107, 0xbeb8f4ab, v71
	s_delay_alu instid0(VALU_DEP_4)
	v_fma_f32 v115, 0xbf1a4643, v52, -v112
	v_mul_f32_e32 v104, 0x3f7ee86f, v60
	v_fma_f32 v117, 0xbe8c1d8e, v53, -v110
	v_mul_f32_e32 v105, 0xbf06c442, v58
	v_fma_f32 v119, 0x3f6eb680, v55, -v107
	v_dual_add_f32 v115, v40, v115 :: v_dual_fmamk_f32 v102, v75, 0xbf1a4643, v111
	v_fmamk_f32 v118, v76, 0x3dbcf732, v104
	v_mul_f32_e32 v109, 0x3f763a35, v54
	v_fmac_f32_e32 v107, 0x3f6eb680, v55
	s_delay_alu instid0(VALU_DEP_4) | instskip(SKIP_3) | instid1(VALU_DEP_4)
	v_add_f32_e32 v117, v117, v115
	v_mul_f32_e32 v100, 0x3f65296c, v67
	v_add_f32_e32 v102, v41, v102
	v_dual_add_f32 v29, v29, v31 :: v_dual_add_f32 v28, v40, v28
	v_dual_add_f32 v117, v119, v117 :: v_dual_fmamk_f32 v106, v77, 0xbe8c1d8e, v109
	v_mul_f32_e32 v103, 0xbf2c7751, v63
	s_delay_alu instid0(VALU_DEP_3) | instskip(NEXT) | instid1(VALU_DEP_4)
	v_add_f32_e32 v25, v29, v25
	v_dual_mul_f32 v115, 0xbf06c442, v56 :: v_dual_add_f32 v28, v28, v30
	s_delay_alu instid0(VALU_DEP_4)
	v_add_f32_e32 v114, v106, v102
	v_mul_f32_e32 v106, 0xbf06c442, v72
	v_fmamk_f32 v116, v79, 0xbf59a7d5, v105
	v_fmamk_f32 v113, v78, 0x3f6eb680, v108
	v_mul_f32_e32 v101, 0xbe3c28d5, v65
	v_mul_f32_e32 v102, 0x3f7ee86f, v68
	v_fma_f32 v108, 0x3f6eb680, v78, -v108
	v_add_f32_e32 v25, v25, v27
	s_delay_alu instid0(VALU_DEP_4) | instskip(NEXT) | instid1(VALU_DEP_4)
	v_dual_add_f32 v114, v113, v114 :: v_dual_fmamk_f32 v121, v83, 0xbf7ba420, v101
	v_fma_f32 v30, 0x3dbcf732, v59, -v102
	s_delay_alu instid0(VALU_DEP_3) | instskip(NEXT) | instid1(VALU_DEP_3)
	v_dual_add_f32 v24, v28, v24 :: v_dual_add_f32 v21, v25, v21
	v_add_f32_e32 v116, v116, v114
	v_mul_f32_e32 v114, 0x3eb8f4ab, v54
	s_delay_alu instid0(VALU_DEP_3) | instskip(NEXT) | instid1(VALU_DEP_4)
	v_dual_mul_f32 v123, 0xbf06c442, v71 :: v_dual_add_f32 v24, v24, v26
	v_add_f32_e32 v124, v21, v23
	s_delay_alu instid0(VALU_DEP_4)
	v_add_f32_e32 v116, v118, v116
	v_fma_f32 v118, 0xbf59a7d5, v57, -v106
	v_fmac_f32_e32 v106, 0xbf59a7d5, v57
	v_fma_f32 v23, 0xbf59a7d5, v55, -v123
	v_fmac_f32_e32 v123, 0xbf59a7d5, v55
	v_mul_f32_e32 v127, 0xbe3c28d5, v70
	v_dual_add_f32 v117, v118, v117 :: v_dual_fmamk_f32 v118, v77, 0x3f6eb680, v114
	v_mul_f32_e32 v135, 0xbf1a4643, v53
	v_mul_f32_e32 v137, 0x3f3d2fb0, v77
	s_delay_alu instid0(VALU_DEP_3) | instskip(SKIP_1) | instid1(VALU_DEP_4)
	v_add_f32_e32 v30, v30, v117
	v_fmamk_f32 v120, v82, 0x3f3d2fb0, v103
	v_dual_mul_f32 v113, 0xbe3c28d5, v61 :: v_dual_add_f32 v92, v135, v92
	s_delay_alu instid0(VALU_DEP_1) | instskip(SKIP_1) | instid1(VALU_DEP_2)
	v_dual_add_f32 v116, v120, v116 :: v_dual_fmamk_f32 v119, v75, 0xbf7ba420, v113
	v_mul_f32_e32 v120, 0xbf2c7751, v73
	v_add_f32_e32 v116, v121, v116
	s_delay_alu instid0(VALU_DEP_3) | instskip(NEXT) | instid1(VALU_DEP_3)
	v_add_f32_e32 v119, v41, v119
	v_fma_f32 v117, 0x3f3d2fb0, v62, -v120
	v_mul_f32_e32 v121, 0xbe3c28d5, v74
	v_fmac_f32_e32 v112, 0xbf1a4643, v52
	s_delay_alu instid0(VALU_DEP_4)
	v_dual_fmac_f32 v120, 0x3f3d2fb0, v62 :: v_dual_add_f32 v31, v118, v119
	v_fmamk_f32 v118, v78, 0xbf59a7d5, v115
	v_mul_f32_e32 v119, 0x3f2c7751, v58
	v_add_f32_e32 v29, v117, v30
	v_fma_f32 v26, 0xbf7ba420, v64, -v121
	v_mul_f32_e32 v117, 0x3f65296c, v63
	s_delay_alu instid0(VALU_DEP_4) | instskip(SKIP_1) | instid1(VALU_DEP_4)
	v_dual_add_f32 v31, v118, v31 :: v_dual_fmamk_f32 v28, v79, 0x3f3d2fb0, v119
	v_mul_f32_e32 v118, 0x3f65296c, v80
	v_dual_add_f32 v26, v26, v29 :: v_dual_mul_f32 v29, 0x3eb8f4ab, v70
	v_fma_f32 v114, 0x3f6eb680, v77, -v114
	s_delay_alu instid0(VALU_DEP_4) | instskip(SKIP_4) | instid1(VALU_DEP_4)
	v_dual_add_f32 v27, v28, v31 :: v_dual_mul_f32 v30, 0xbf4c4adb, v60
	v_dual_mul_f32 v31, 0xbe3c28d5, v69 :: v_dual_add_f32 v20, v24, v20
	v_fmamk_f32 v122, v81, 0x3ee437d1, v100
	v_fma_f32 v24, 0x3ee437d1, v66, -v118
	v_add_f32_e32 v112, v40, v112
	v_fma_f32 v25, 0xbf7ba420, v52, -v31
	v_add_f32_e32 v125, v20, v22
	v_dual_fmamk_f32 v28, v76, 0xbf1a4643, v30 :: v_dual_add_f32 v21, v122, v116
	v_fmac_f32_e32 v31, 0xbf7ba420, v52
	s_delay_alu instid0(VALU_DEP_3) | instskip(NEXT) | instid1(VALU_DEP_3)
	v_dual_add_f32 v25, v40, v25 :: v_dual_add_f32 v16, v125, v16
	v_add_f32_e32 v27, v28, v27
	v_fma_f32 v28, 0x3f6eb680, v53, -v29
	s_delay_alu instid0(VALU_DEP_4) | instskip(SKIP_2) | instid1(VALU_DEP_4)
	v_add_f32_e32 v31, v40, v31
	v_fmac_f32_e32 v29, 0x3f6eb680, v53
	v_dual_add_f32 v125, v16, v18 :: v_dual_fmac_f32 v110, 0xbe8c1d8e, v53
	v_dual_add_f32 v20, v28, v25 :: v_dual_mul_f32 v25, 0x3f2c7751, v72
	v_fma_f32 v28, 0xbf7ba420, v75, -v113
	v_fmamk_f32 v22, v82, 0x3ee437d1, v117
	v_mul_f32_e32 v113, 0xbf763a35, v65
	s_delay_alu instid0(VALU_DEP_4)
	v_add_f32_e32 v23, v23, v20
	v_fma_f32 v116, 0x3f3d2fb0, v57, -v25
	v_add_f32_e32 v28, v41, v28
	v_mul_f32_e32 v122, 0xbf4c4adb, v68
	v_add_f32_e32 v20, v24, v26
	v_add_f32_e32 v22, v22, v27
	;; [unrolled: 1-line block ×3, first 2 shown]
	v_fma_f32 v27, 0xbf59a7d5, v78, -v115
	v_fma_f32 v24, 0xbf1a4643, v59, -v122
	v_add_f32_e32 v26, v114, v28
	v_mul_f32_e32 v28, 0x3f65296c, v73
	v_fmac_f32_e32 v25, 0x3f3d2fb0, v57
	v_fmac_f32_e32 v122, 0xbf1a4643, v59
	s_delay_alu instid0(VALU_DEP_4) | instskip(NEXT) | instid1(VALU_DEP_4)
	v_dual_add_f32 v23, v24, v23 :: v_dual_add_f32 v24, v27, v26
	v_fma_f32 v26, 0x3ee437d1, v62, -v28
	v_fma_f32 v27, 0x3f3d2fb0, v79, -v119
	v_fmamk_f32 v114, v83, 0xbe8c1d8e, v113
	v_mul_f32_e32 v119, 0x3f7ee86f, v80
	v_fma_f32 v113, 0xbe8c1d8e, v83, -v113
	s_delay_alu instid0(VALU_DEP_4) | instskip(SKIP_3) | instid1(VALU_DEP_3)
	v_dual_add_f32 v23, v26, v23 :: v_dual_add_f32 v24, v27, v24
	v_fma_f32 v26, 0xbf1a4643, v76, -v30
	v_mul_f32_e32 v30, 0xbf763a35, v74
	v_dual_add_f32 v22, v114, v22 :: v_dual_add_f32 v27, v29, v31
	v_dual_mul_f32 v29, 0x3f7ee86f, v67 :: v_dual_add_f32 v24, v26, v24
	s_delay_alu instid0(VALU_DEP_3) | instskip(SKIP_1) | instid1(VALU_DEP_4)
	v_fma_f32 v26, 0xbe8c1d8e, v64, -v30
	v_fma_f32 v31, 0x3ee437d1, v82, -v117
	v_add_f32_e32 v114, v123, v27
	v_mul_f32_e32 v27, 0xbf59a7d5, v75
	v_dual_fmac_f32 v28, 0x3ee437d1, v62 :: v_dual_add_f32 v17, v124, v17
	v_dual_add_f32 v26, v26, v23 :: v_dual_fmamk_f32 v23, v81, 0x3dbcf732, v29
	s_delay_alu instid0(VALU_DEP_4) | instskip(SKIP_2) | instid1(VALU_DEP_3)
	v_dual_add_f32 v25, v25, v114 :: v_dual_add_f32 v24, v31, v24
	v_fma_f32 v31, 0x3dbcf732, v66, -v119
	v_fma_f32 v29, 0x3dbcf732, v81, -v29
	v_dual_add_f32 v23, v23, v22 :: v_dual_add_f32 v114, v122, v25
	v_mul_f32_e32 v25, 0x3dbcf732, v78
	s_delay_alu instid0(VALU_DEP_4) | instskip(SKIP_1) | instid1(VALU_DEP_4)
	v_dual_add_f32 v22, v31, v26 :: v_dual_fmamk_f32 v31, v61, 0x3f06c442, v27
	v_add_f32_e32 v116, v113, v24
	v_dual_add_f32 v28, v28, v114 :: v_dual_mul_f32 v117, 0x3f6eb680, v76
	s_delay_alu instid0(VALU_DEP_3) | instskip(SKIP_4) | instid1(VALU_DEP_4)
	v_dual_mul_f32 v114, 0xbf06c442, v69 :: v_dual_add_f32 v31, v41, v31
	v_mul_f32_e32 v26, 0x3ee437d1, v77
	v_fmac_f32_e32 v30, 0xbe8c1d8e, v64
	v_dual_fmamk_f32 v113, v56, 0x3f7ee86f, v25 :: v_dual_add_f32 v124, v17, v19
	v_add_f32_e32 v17, v29, v116
	v_fmamk_f32 v115, v54, 0xbf65296c, v26
	s_delay_alu instid0(VALU_DEP_4) | instskip(SKIP_2) | instid1(VALU_DEP_4)
	v_add_f32_e32 v28, v30, v28
	v_mul_f32_e32 v24, 0xbf1a4643, v79
	v_mul_f32_e32 v29, 0x3f4c4adb, v72
	v_dual_add_f32 v110, v110, v112 :: v_dual_add_f32 v31, v115, v31
	v_fmac_f32_e32 v119, 0x3dbcf732, v66
	v_mul_f32_e32 v115, 0x3f65296c, v70
	v_fma_f32 v112, 0x3f3d2fb0, v82, -v103
	s_delay_alu instid0(VALU_DEP_4) | instskip(SKIP_2) | instid1(VALU_DEP_3)
	v_dual_add_f32 v107, v107, v110 :: v_dual_add_f32 v30, v113, v31
	v_fmamk_f32 v31, v52, 0xbf59a7d5, v114
	v_dual_mul_f32 v113, 0xbf7ee86f, v71 :: v_dual_add_f32 v12, v125, v12
	v_dual_add_f32 v106, v106, v107 :: v_dual_add_f32 v107, v124, v13
	v_mul_f32_e32 v13, 0x3f3d2fb0, v78
	s_delay_alu instid0(VALU_DEP_3) | instskip(SKIP_1) | instid1(VALU_DEP_4)
	v_dual_add_f32 v31, v40, v31 :: v_dual_fmamk_f32 v18, v55, 0x3dbcf732, v113
	v_fmamk_f32 v123, v53, 0x3ee437d1, v115
	v_add_f32_e32 v107, v107, v15
	v_mul_f32_e32 v15, 0xbf763a35, v69
	v_mul_f32_e32 v125, 0xbeb8f4ab, v74
	v_fma_f32 v100, 0x3ee437d1, v81, -v100
	v_dual_add_f32 v16, v123, v31 :: v_dual_fmamk_f32 v31, v60, 0x3eb8f4ab, v117
	v_fmamk_f32 v122, v58, 0xbf4c4adb, v24
	v_fma_f32 v123, 0xbe8c1d8e, v77, -v109
	v_add_f32_e32 v9, v107, v9
	v_mul_f32_e32 v107, 0x3f2c7751, v71
	v_fmac_f32_e32 v121, 0xbf7ba420, v64
	v_add_f32_e32 v19, v122, v30
	v_add_f32_e32 v18, v18, v16
	v_fmamk_f32 v122, v57, 0xbf1a4643, v29
	v_add_f32_e32 v16, v119, v28
	v_dual_mul_f32 v28, 0xbe3c28d5, v73 :: v_dual_add_f32 v9, v9, v11
	v_fmac_f32_e32 v102, 0x3dbcf732, v59
	s_delay_alu instid0(VALU_DEP_4)
	v_dual_add_f32 v18, v122, v18 :: v_dual_add_f32 v19, v31, v19
	v_mul_f32_e32 v116, 0xbf7ba420, v82
	v_fma_f32 v122, 0xbf1a4643, v75, -v111
	v_mul_f32_e32 v111, 0x3f3d2fb0, v83
	v_add_f32_e32 v5, v9, v5
	v_mul_f32_e32 v9, 0x3f6eb680, v83
	s_delay_alu instid0(VALU_DEP_4) | instskip(SKIP_3) | instid1(VALU_DEP_4)
	v_dual_fmamk_f32 v31, v63, 0x3e3c28d5, v116 :: v_dual_add_f32 v122, v41, v122
	v_mul_f32_e32 v109, 0xbe8c1d8e, v81
	v_fmamk_f32 v126, v65, 0xbf2c7751, v111
	v_add_f32_e32 v5, v5, v7
	v_add_f32_e32 v19, v31, v19
	v_mul_f32_e32 v31, 0x3f2c7751, v74
	v_add_f32_e32 v122, v123, v122
	v_fmamk_f32 v123, v67, 0x3f763a35, v109
	v_add_f32_e32 v1, v5, v1
	v_dual_add_f32 v19, v126, v19 :: v_dual_mul_f32 v30, 0xbeb8f4ab, v68
	s_delay_alu instid0(VALU_DEP_4) | instskip(NEXT) | instid1(VALU_DEP_3)
	v_add_f32_e32 v108, v108, v122
	v_dual_fmac_f32 v118, 0x3ee437d1, v66 :: v_dual_add_f32 v1, v1, v3
	s_delay_alu instid0(VALU_DEP_3) | instskip(NEXT) | instid1(VALU_DEP_4)
	v_add_f32_e32 v19, v123, v19
	v_fmamk_f32 v119, v59, 0x3f6eb680, v30
	v_mul_f32_e32 v126, 0xbf7ee86f, v69
	v_fmac_f32_e32 v26, 0x3f65296c, v54
	v_fma_f32 v115, 0x3ee437d1, v53, -v115
	v_fma_f32 v29, 0xbf1a4643, v57, -v29
	v_dual_add_f32 v18, v119, v18 :: v_dual_fmamk_f32 v119, v62, 0xbf7ba420, v28
	v_fma_f32 v28, 0xbf7ba420, v62, -v28
	v_fmac_f32_e32 v24, 0x3f4c4adb, v58
	v_fmac_f32_e32 v116, 0xbe3c28d5, v63
	s_delay_alu instid0(VALU_DEP_4) | instskip(SKIP_3) | instid1(VALU_DEP_4)
	v_dual_fmac_f32 v27, 0xbf06c442, v61 :: v_dual_add_f32 v18, v119, v18
	v_fmamk_f32 v119, v64, 0x3f3d2fb0, v31
	v_fmac_f32_e32 v25, 0xbf7ee86f, v56
	v_fmac_f32_e32 v117, 0xbeb8f4ab, v60
	v_add_f32_e32 v27, v41, v27
	s_delay_alu instid0(VALU_DEP_4) | instskip(SKIP_1) | instid1(VALU_DEP_3)
	v_dual_fmac_f32 v111, 0x3f2c7751, v65 :: v_dual_add_f32 v18, v119, v18
	v_fma_f32 v119, 0xbf59a7d5, v79, -v105
	v_dual_mul_f32 v105, 0xbf763a35, v80 :: v_dual_add_f32 v26, v26, v27
	s_delay_alu instid0(VALU_DEP_2) | instskip(SKIP_1) | instid1(VALU_DEP_3)
	v_dual_fmac_f32 v109, 0xbf763a35, v67 :: v_dual_add_f32 v108, v119, v108
	v_fma_f32 v119, 0x3dbcf732, v76, -v104
	v_fmamk_f32 v122, v66, 0xbe8c1d8e, v105
	v_mul_f32_e32 v103, 0xbf59a7d5, v77
	s_delay_alu instid0(VALU_DEP_3) | instskip(NEXT) | instid1(VALU_DEP_3)
	v_dual_add_f32 v25, v25, v26 :: v_dual_add_f32 v108, v119, v108
	v_add_f32_e32 v18, v122, v18
	s_delay_alu instid0(VALU_DEP_2)
	v_add_f32_e32 v108, v112, v108
	v_add_f32_e32 v112, v12, v14
	v_fmamk_f32 v14, v56, 0xbf2c7751, v13
	v_mul_f32_e32 v12, 0x3ee437d1, v79
	v_fmac_f32_e32 v13, 0x3f2c7751, v56
	v_fmamk_f32 v138, v54, 0x3f2c7751, v137
	v_add_f32_e32 v8, v112, v8
	v_mul_f32_e32 v104, 0xbe8c1d8e, v75
	v_fmac_f32_e32 v137, 0xbf2c7751, v54
	s_delay_alu instid0(VALU_DEP_3) | instskip(NEXT) | instid1(VALU_DEP_3)
	v_add_f32_e32 v11, v8, v10
	v_fmamk_f32 v119, v61, 0x3f763a35, v104
	v_mul_f32_e32 v10, 0x3dbcf732, v82
	v_add_f32_e32 v102, v102, v106
	v_fmamk_f32 v106, v52, 0xbe8c1d8e, v15
	v_add_f32_e32 v4, v11, v4
	v_dual_add_f32 v110, v41, v119 :: v_dual_fmamk_f32 v119, v54, 0xbf06c442, v103
	s_delay_alu instid0(VALU_DEP_3) | instskip(SKIP_2) | instid1(VALU_DEP_4)
	v_dual_fmamk_f32 v11, v63, 0xbf7ee86f, v10 :: v_dual_add_f32 v106, v40, v106
	v_fma_f32 v15, 0xbe8c1d8e, v52, -v15
	v_fmac_f32_e32 v103, 0x3f06c442, v54
	v_add_f32_e32 v110, v119, v110
	v_fma_f32 v119, 0xbf7ba420, v83, -v101
	v_mul_f32_e32 v101, 0x3f06c442, v70
	s_delay_alu instid0(VALU_DEP_3) | instskip(NEXT) | instid1(VALU_DEP_2)
	v_dual_add_f32 v15, v40, v15 :: v_dual_add_f32 v110, v14, v110
	v_dual_add_f32 v108, v119, v108 :: v_dual_fmamk_f32 v123, v53, 0xbf59a7d5, v101
	v_dual_add_f32 v119, v120, v102 :: v_dual_fmamk_f32 v122, v58, 0x3f65296c, v12
	v_mul_f32_e32 v14, 0xbf7ba420, v76
	s_delay_alu instid0(VALU_DEP_3) | instskip(NEXT) | instid1(VALU_DEP_3)
	v_add_f32_e32 v8, v100, v108
	v_dual_add_f32 v106, v123, v106 :: v_dual_add_f32 v3, v121, v119
	s_delay_alu instid0(VALU_DEP_4)
	v_add_f32_e32 v110, v122, v110
	v_fmamk_f32 v122, v53, 0xbf7ba420, v127
	v_fmamk_f32 v120, v55, 0x3f3d2fb0, v107
	;; [unrolled: 1-line block ×3, first 2 shown]
	v_mul_f32_e32 v102, 0xbf65296c, v72
	v_dual_mul_f32 v121, 0x3f763a35, v71 :: v_dual_add_f32 v4, v4, v6
	s_delay_alu instid0(VALU_DEP_4) | instskip(NEXT) | instid1(VALU_DEP_4)
	v_add_f32_e32 v100, v120, v106
	v_add_f32_e32 v112, v112, v110
	v_mul_f32_e32 v106, 0xbe3c28d5, v68
	s_delay_alu instid0(VALU_DEP_4) | instskip(SKIP_4) | instid1(VALU_DEP_4)
	v_fmamk_f32 v123, v55, 0xbe8c1d8e, v121
	v_fmamk_f32 v108, v57, 0x3ee437d1, v102
	v_mul_f32_e32 v120, 0xbf1a4643, v81
	v_add_f32_e32 v112, v11, v112
	v_fmamk_f32 v6, v59, 0xbf7ba420, v106
	v_dual_mul_f32 v11, 0x3dbcf732, v75 :: v_dual_add_f32 v100, v108, v100
	v_mul_f32_e32 v110, 0x3f7ee86f, v73
	v_add_f32_e32 v0, v4, v0
	v_fmamk_f32 v130, v67, 0x3f4c4adb, v120
	v_fma_f32 v101, 0xbf59a7d5, v53, -v101
	v_dual_add_f32 v5, v6, v100 :: v_dual_fmamk_f32 v6, v61, 0x3f7ee86f, v11
	v_mul_f32_e32 v100, 0xbf7ba420, v77
	v_add_f32_e32 v0, v0, v2
	s_delay_alu instid0(VALU_DEP_4) | instskip(NEXT) | instid1(VALU_DEP_3)
	v_dual_fmamk_f32 v2, v62, 0x3dbcf732, v110 :: v_dual_add_f32 v15, v101, v15
	v_dual_add_f32 v7, v41, v6 :: v_dual_fmamk_f32 v108, v54, 0x3e3c28d5, v100
	v_mul_f32_e32 v6, 0xbe8c1d8e, v78
	s_delay_alu instid0(VALU_DEP_3) | instskip(SKIP_1) | instid1(VALU_DEP_4)
	v_add_f32_e32 v2, v2, v5
	v_fmac_f32_e32 v11, 0xbf7ee86f, v61
	v_dual_fmac_f32 v12, 0xbf65296c, v58 :: v_dual_add_f32 v5, v108, v7
	v_dual_add_f32 v7, v118, v3 :: v_dual_fmamk_f32 v118, v52, 0x3dbcf732, v126
	v_fmamk_f32 v3, v64, 0x3f6eb680, v125
	v_fmamk_f32 v119, v56, 0xbf763a35, v6
	v_mul_f32_e32 v108, 0x3f6eb680, v79
	s_delay_alu instid0(VALU_DEP_4) | instskip(NEXT) | instid1(VALU_DEP_4)
	v_dual_add_f32 v11, v41, v11 :: v_dual_add_f32 v118, v40, v118
	v_add_f32_e32 v2, v3, v2
	s_delay_alu instid0(VALU_DEP_4) | instskip(NEXT) | instid1(VALU_DEP_4)
	v_add_f32_e32 v5, v119, v5
	v_fmamk_f32 v119, v58, 0xbeb8f4ab, v108
	s_delay_alu instid0(VALU_DEP_4) | instskip(SKIP_1) | instid1(VALU_DEP_3)
	v_dual_fmac_f32 v14, 0xbe3c28d5, v60 :: v_dual_add_f32 v3, v122, v118
	v_mul_f32_e32 v122, 0x3eb8f4ab, v72
	v_dual_mul_f32 v118, 0xbf59a7d5, v82 :: v_dual_add_f32 v5, v119, v5
	v_fmac_f32_e32 v10, 0x3f7ee86f, v63
	s_delay_alu instid0(VALU_DEP_3) | instskip(SKIP_1) | instid1(VALU_DEP_4)
	v_dual_add_f32 v3, v123, v3 :: v_dual_fmamk_f32 v124, v57, 0x3f6eb680, v122
	v_mul_f32_e32 v123, 0xbf65296c, v68
	v_fmamk_f32 v129, v63, 0x3f06c442, v118
	s_delay_alu instid0(VALU_DEP_3) | instskip(NEXT) | instid1(VALU_DEP_3)
	v_add_f32_e32 v3, v124, v3
	v_fmamk_f32 v131, v59, 0x3ee437d1, v123
	s_delay_alu instid0(VALU_DEP_1) | instskip(NEXT) | instid1(VALU_DEP_1)
	v_dual_mul_f32 v124, 0xbf06c442, v73 :: v_dual_add_f32 v131, v131, v3
	v_fmamk_f32 v134, v62, 0xbf59a7d5, v124
	v_fmamk_f32 v4, v65, 0x3eb8f4ab, v9
	s_delay_alu instid0(VALU_DEP_1) | instskip(SKIP_1) | instid1(VALU_DEP_1)
	v_dual_fmac_f32 v9, 0xbeb8f4ab, v65 :: v_dual_add_f32 v4, v4, v112
	v_mul_f32_e32 v112, 0x3ee437d1, v76
	v_fmamk_f32 v119, v60, 0x3f65296c, v112
	s_delay_alu instid0(VALU_DEP_1) | instskip(SKIP_1) | instid1(VALU_DEP_2)
	v_add_f32_e32 v5, v119, v5
	v_mul_f32_e32 v119, 0xbf1a4643, v83
	v_dual_mul_f32 v128, 0xbf4c4adb, v80 :: v_dual_add_f32 v5, v129, v5
	s_delay_alu instid0(VALU_DEP_2) | instskip(NEXT) | instid1(VALU_DEP_2)
	v_fmamk_f32 v133, v65, 0xbf4c4adb, v119
	v_fmamk_f32 v132, v66, 0xbf1a4643, v128
	v_mul_f32_e32 v129, 0x3f4c4adb, v74
	v_dual_add_f32 v3, v130, v4 :: v_dual_mul_f32 v130, 0x3f3d2fb0, v81
	s_delay_alu instid0(VALU_DEP_4)
	v_add_f32_e32 v4, v133, v5
	v_mul_f32_e32 v133, 0xbf65296c, v61
	v_add_f32_e32 v5, v134, v131
	v_fmamk_f32 v131, v64, 0xbf1a4643, v129
	v_fmamk_f32 v134, v67, 0xbf2c7751, v130
	v_fmac_f32_e32 v119, 0x3f4c4adb, v65
	v_dual_sub_f32 v98, v98, v133 :: v_dual_mul_f32 v133, 0x3f2c7751, v80
	v_add_f32_e32 v2, v132, v2
	v_dual_mul_f32 v132, 0xbf4c4adb, v54 :: v_dual_add_f32 v131, v131, v5
	v_add_f32_e32 v5, v134, v4
	s_delay_alu instid0(VALU_DEP_4) | instskip(SKIP_1) | instid1(VALU_DEP_4)
	v_fmamk_f32 v134, v66, 0x3f3d2fb0, v133
	v_fmac_f32_e32 v100, 0xbe3c28d5, v54
	v_sub_f32_e32 v4, v97, v132
	v_mul_f32_e32 v97, 0x3ee437d1, v52
	v_mul_f32_e32 v132, 0x3e3c28d5, v56
	v_fmac_f32_e32 v120, 0xbf4c4adb, v67
	v_add_f32_e32 v11, v100, v11
	s_delay_alu instid0(VALU_DEP_4) | instskip(SKIP_2) | instid1(VALU_DEP_3)
	v_add_f32_e32 v93, v97, v93
	v_mul_f32_e32 v97, 0x3f763a35, v58
	v_add_f32_e32 v98, v41, v98
	v_dual_fmac_f32 v6, 0x3f763a35, v56 :: v_dual_add_f32 v93, v40, v93
	s_delay_alu instid0(VALU_DEP_3) | instskip(NEXT) | instid1(VALU_DEP_3)
	v_sub_f32_e32 v90, v90, v97
	v_add_f32_e32 v4, v4, v98
	v_mul_f32_e32 v98, 0xbf7ba420, v55
	s_delay_alu instid0(VALU_DEP_4) | instskip(SKIP_1) | instid1(VALU_DEP_3)
	v_dual_mul_f32 v97, 0xbf4c4adb, v71 :: v_dual_add_f32 v92, v92, v93
	v_mul_f32_e32 v93, 0xbe8c1d8e, v57
	v_dual_mul_f32 v71, 0xbf65296c, v71 :: v_dual_add_f32 v88, v98, v88
	v_mul_f32_e32 v98, 0xbf59a7d5, v76
	s_delay_alu instid0(VALU_DEP_3) | instskip(NEXT) | instid1(VALU_DEP_3)
	v_dual_fmac_f32 v108, 0x3eb8f4ab, v58 :: v_dual_add_f32 v85, v93, v85
	v_add_f32_e32 v88, v88, v92
	s_delay_alu instid0(VALU_DEP_1) | instskip(NEXT) | instid1(VALU_DEP_1)
	v_dual_mul_f32 v92, 0x3f3d2fb0, v59 :: v_dual_add_f32 v85, v85, v88
	v_add_f32_e32 v84, v92, v84
	v_mul_f32_e32 v88, 0x3f6eb680, v62
	v_mul_f32_e32 v92, 0x3dbcf732, v77
	s_delay_alu instid0(VALU_DEP_3) | instskip(NEXT) | instid1(VALU_DEP_3)
	v_add_f32_e32 v84, v84, v85
	v_add_f32_e32 v85, v88, v87
	v_mul_f32_e32 v87, 0x3dbcf732, v64
	s_delay_alu instid0(VALU_DEP_2) | instskip(NEXT) | instid1(VALU_DEP_2)
	v_dual_fmamk_f32 v93, v54, 0x3f7ee86f, v92 :: v_dual_add_f32 v84, v85, v84
	v_add_f32_e32 v85, v87, v86
	v_mul_f32_e32 v86, 0xbf59a7d5, v66
	v_fmac_f32_e32 v112, 0xbf65296c, v60
	s_delay_alu instid0(VALU_DEP_2) | instskip(SKIP_3) | instid1(VALU_DEP_3)
	v_add_f32_e32 v86, v86, v89
	v_dual_mul_f32 v89, 0xbf2c7751, v69 :: v_dual_sub_f32 v94, v94, v132
	v_mul_f32_e32 v69, 0xbeb8f4ab, v69
	v_mul_f32_e32 v132, 0x3f06c442, v68
	v_add_f32_e32 v4, v94, v4
	v_mul_f32_e32 v94, 0x3f2c7751, v60
	s_delay_alu instid0(VALU_DEP_4) | instskip(NEXT) | instid1(VALU_DEP_3)
	v_dual_fmamk_f32 v139, v52, 0x3f6eb680, v69 :: v_dual_add_f32 v84, v85, v84
	v_add_f32_e32 v4, v90, v4
	s_delay_alu instid0(VALU_DEP_3) | instskip(NEXT) | instid1(VALU_DEP_3)
	v_dual_sub_f32 v90, v91, v94 :: v_dual_mul_f32 v91, 0xbeb8f4ab, v63
	v_dual_mul_f32 v94, 0xbf1a4643, v78 :: v_dual_add_f32 v139, v40, v139
	s_delay_alu instid0(VALU_DEP_4) | instskip(NEXT) | instid1(VALU_DEP_3)
	v_add_f32_e32 v84, v86, v84
	v_add_f32_e32 v4, v90, v4
	s_delay_alu instid0(VALU_DEP_4) | instskip(SKIP_3) | instid1(VALU_DEP_4)
	v_dual_sub_f32 v90, v99, v91 :: v_dual_mul_f32 v91, 0xbf7ee86f, v65
	v_mul_f32_e32 v99, 0xbe3c28d5, v72
	v_mul_f32_e32 v78, 0x3ee437d1, v78
	;; [unrolled: 1-line block ×3, first 2 shown]
	v_dual_add_f32 v90, v90, v4 :: v_dual_sub_f32 v91, v96, v91
	s_delay_alu instid0(VALU_DEP_1) | instskip(SKIP_3) | instid1(VALU_DEP_3)
	v_add_f32_e32 v88, v91, v90
	v_mul_f32_e32 v90, 0xbf06c442, v67
	v_mul_f32_e32 v91, 0x3f3d2fb0, v75
	;; [unrolled: 1-line block ×3, first 2 shown]
	v_dual_fmac_f32 v130, 0x3f2c7751, v67 :: v_dual_sub_f32 v87, v95, v90
	s_delay_alu instid0(VALU_DEP_3) | instskip(SKIP_1) | instid1(VALU_DEP_4)
	v_fmamk_f32 v90, v61, 0x3f2c7751, v91
	v_mul_f32_e32 v95, 0xbf7ba420, v79
	v_fmamk_f32 v136, v61, 0x3eb8f4ab, v75
	v_mul_f32_e32 v79, 0x3dbcf732, v79
	v_add_f32_e32 v85, v87, v88
	v_fmamk_f32 v87, v52, 0x3f3d2fb0, v89
	v_mul_f32_e32 v88, 0xbf7ee86f, v70
	v_add_f32_e32 v90, v41, v90
	v_add_f32_e32 v136, v41, v136
	v_dual_mul_f32 v70, 0xbf2c7751, v70 :: v_dual_fmac_f32 v91, 0xbf2c7751, v61
	s_delay_alu instid0(VALU_DEP_4) | instskip(NEXT) | instid1(VALU_DEP_4)
	v_dual_add_f32 v87, v40, v87 :: v_dual_fmamk_f32 v96, v53, 0x3dbcf732, v88
	v_dual_add_f32 v90, v93, v90 :: v_dual_fmamk_f32 v93, v56, 0x3f4c4adb, v94
	s_delay_alu instid0(VALU_DEP_4) | instskip(SKIP_1) | instid1(VALU_DEP_4)
	v_add_f32_e32 v136, v138, v136
	v_fmamk_f32 v138, v56, 0x3f65296c, v78
	v_dual_add_f32 v87, v96, v87 :: v_dual_fmamk_f32 v96, v55, 0xbf1a4643, v97
	s_delay_alu instid0(VALU_DEP_4) | instskip(SKIP_1) | instid1(VALU_DEP_3)
	v_dual_add_f32 v90, v93, v90 :: v_dual_fmamk_f32 v93, v58, 0x3e3c28d5, v95
	v_fmamk_f32 v140, v53, 0x3f3d2fb0, v70
	v_dual_fmac_f32 v94, 0xbf4c4adb, v56 :: v_dual_add_f32 v87, v96, v87
	v_fmamk_f32 v96, v57, 0xbf7ba420, v99
	v_mul_f32_e32 v68, 0xbf763a35, v68
	v_fmac_f32_e32 v95, 0xbe3c28d5, v58
	v_fmac_f32_e32 v118, 0xbf06c442, v63
	s_delay_alu instid0(VALU_DEP_4) | instskip(SKIP_3) | instid1(VALU_DEP_3)
	v_dual_fmac_f32 v75, 0xbeb8f4ab, v61 :: v_dual_add_f32 v86, v96, v87
	v_fmamk_f32 v87, v59, 0xbf59a7d5, v132
	v_mul_f32_e32 v96, 0x3f763a35, v73
	v_dual_mul_f32 v73, 0xbf4c4adb, v73 :: v_dual_add_f32 v90, v93, v90
	v_dual_fmamk_f32 v93, v60, 0xbf06c442, v98 :: v_dual_add_f32 v86, v87, v86
	s_delay_alu instid0(VALU_DEP_3) | instskip(SKIP_1) | instid1(VALU_DEP_2)
	v_fmamk_f32 v87, v62, 0xbe8c1d8e, v96
	v_fmac_f32_e32 v98, 0x3f06c442, v60
	v_dual_fmac_f32 v78, 0xbf65296c, v56 :: v_dual_add_f32 v77, v87, v86
	v_dual_mul_f32 v87, 0x3f6eb680, v81 :: v_dual_add_f32 v4, v134, v131
	v_mul_f32_e32 v131, 0xbe8c1d8e, v82
	v_mul_f32_e32 v134, 0x3f65296c, v74
	;; [unrolled: 1-line block ×3, first 2 shown]
	v_add_f32_e32 v90, v93, v90
	v_mul_f32_e32 v82, 0xbf1a4643, v82
	v_fmamk_f32 v93, v63, 0xbf763a35, v131
	v_fmamk_f32 v86, v64, 0x3ee437d1, v134
	v_mul_f32_e32 v81, 0xbf7ba420, v81
	v_dual_add_f32 v24, v24, v25 :: v_dual_fmac_f32 v131, 0x3f763a35, v63
	s_delay_alu instid0(VALU_DEP_4) | instskip(NEXT) | instid1(VALU_DEP_4)
	v_dual_add_f32 v90, v93, v90 :: v_dual_mul_f32 v93, 0x3ee437d1, v83
	v_dual_add_f32 v86, v86, v77 :: v_dual_mul_f32 v83, 0xbf59a7d5, v83
	s_delay_alu instid0(VALU_DEP_2) | instskip(NEXT) | instid1(VALU_DEP_1)
	v_dual_add_f32 v6, v6, v11 :: v_dual_fmamk_f32 v135, v65, 0xbf65296c, v93
	v_dual_fmac_f32 v93, 0x3f65296c, v65 :: v_dual_add_f32 v90, v135, v90
	v_fmamk_f32 v135, v67, 0xbeb8f4ab, v87
	v_fmac_f32_e32 v87, 0x3eb8f4ab, v67
	s_delay_alu instid0(VALU_DEP_2)
	v_dual_fmac_f32 v104, 0xbf763a35, v61 :: v_dual_add_f32 v77, v135, v90
	v_mul_f32_e32 v90, 0x3eb8f4ab, v80
	v_add_f32_e32 v135, v138, v136
	v_mul_f32_e32 v138, 0xbe8c1d8e, v76
	v_fmamk_f32 v136, v58, 0x3f7ee86f, v79
	v_dual_add_f32 v104, v41, v104 :: v_dual_fmac_f32 v79, 0xbf7ee86f, v58
	s_delay_alu instid0(VALU_DEP_2) | instskip(NEXT) | instid1(VALU_DEP_4)
	v_dual_fmamk_f32 v76, v66, 0x3f6eb680, v90 :: v_dual_add_f32 v135, v136, v135
	v_fmamk_f32 v136, v60, 0x3f763a35, v138
	v_fmac_f32_e32 v138, 0xbf763a35, v60
	s_delay_alu instid0(VALU_DEP_3) | instskip(SKIP_1) | instid1(VALU_DEP_4)
	v_add_f32_e32 v76, v76, v86
	v_dual_add_f32 v86, v140, v139 :: v_dual_fmamk_f32 v139, v55, 0x3ee437d1, v71
	v_dual_add_f32 v135, v136, v135 :: v_dual_fmamk_f32 v136, v63, 0x3f4c4adb, v82
	v_fmac_f32_e32 v92, 0xbf7ee86f, v54
	s_delay_alu instid0(VALU_DEP_3) | instskip(NEXT) | instid1(VALU_DEP_3)
	v_dual_add_f32 v86, v139, v86 :: v_dual_fmamk_f32 v139, v65, 0x3f06c442, v83
	v_dual_add_f32 v135, v136, v135 :: v_dual_fmamk_f32 v136, v57, 0x3dbcf732, v72
	v_dual_fmac_f32 v83, 0xbf06c442, v65 :: v_dual_add_f32 v6, v108, v6
	s_delay_alu instid0(VALU_DEP_2) | instskip(SKIP_1) | instid1(VALU_DEP_3)
	v_dual_add_f32 v135, v139, v135 :: v_dual_add_f32 v86, v136, v86
	v_fmamk_f32 v136, v59, 0xbe8c1d8e, v68
	v_add_f32_e32 v6, v112, v6
	s_delay_alu instid0(VALU_DEP_2) | instskip(NEXT) | instid1(VALU_DEP_2)
	v_dual_add_f32 v27, v136, v86 :: v_dual_fmamk_f32 v86, v62, 0xbf1a4643, v73
	v_add_f32_e32 v6, v118, v6
	s_delay_alu instid0(VALU_DEP_2) | instskip(SKIP_1) | instid1(VALU_DEP_3)
	v_dual_add_f32 v26, v86, v27 :: v_dual_fmamk_f32 v27, v64, 0xbf59a7d5, v74
	v_fmamk_f32 v86, v67, 0x3e3c28d5, v81
	v_add_f32_e32 v6, v119, v6
	v_dual_mul_f32 v80, 0xbe3c28d5, v80 :: v_dual_fmac_f32 v81, 0xbe3c28d5, v67
	s_delay_alu instid0(VALU_DEP_4) | instskip(SKIP_2) | instid1(VALU_DEP_4)
	v_add_f32_e32 v26, v27, v26
	v_fma_f32 v27, 0xbf59a7d5, v52, -v114
	v_add_f32_e32 v25, v86, v135
	v_fmamk_f32 v86, v66, 0xbf7ba420, v80
	s_delay_alu instid0(VALU_DEP_3) | instskip(NEXT) | instid1(VALU_DEP_2)
	v_dual_add_f32 v114, v117, v24 :: v_dual_add_f32 v27, v40, v27
	v_add_f32_e32 v24, v86, v26
	v_fma_f32 v86, 0x3dbcf732, v55, -v113
	s_delay_alu instid0(VALU_DEP_3) | instskip(NEXT) | instid1(VALU_DEP_1)
	v_dual_add_f32 v26, v116, v114 :: v_dual_add_f32 v27, v115, v27
	v_dual_add_f32 v26, v111, v26 :: v_dual_add_f32 v27, v86, v27
	s_delay_alu instid0(VALU_DEP_1) | instskip(SKIP_1) | instid1(VALU_DEP_2)
	v_dual_add_f32 v86, v103, v104 :: v_dual_add_f32 v27, v29, v27
	v_fma_f32 v29, 0x3f6eb680, v59, -v30
	v_add_f32_e32 v13, v13, v86
	v_fma_f32 v30, 0x3f3d2fb0, v55, -v107
	s_delay_alu instid0(VALU_DEP_2) | instskip(NEXT) | instid1(VALU_DEP_2)
	v_dual_add_f32 v27, v29, v27 :: v_dual_add_f32 v12, v12, v13
	v_add_f32_e32 v15, v30, v15
	v_add_f32_e32 v13, v109, v26
	v_fma_f32 v26, 0x3f3d2fb0, v64, -v31
	s_delay_alu instid0(VALU_DEP_4)
	v_add_f32_e32 v27, v28, v27
	v_fma_f32 v28, 0x3ee437d1, v57, -v102
	v_add_f32_e32 v12, v14, v12
	v_fma_f32 v29, 0x3f3d2fb0, v53, -v70
	v_mul_u32_u24_e32 v30, 0x88, v34
	v_add_f32_e32 v26, v26, v27
	v_add_f32_e32 v14, v28, v15
	v_fma_f32 v15, 0xbf7ba420, v59, -v106
	v_add_f32_e32 v10, v10, v12
	v_fma_f32 v27, 0xbe8c1d8e, v66, -v105
	v_add_f32_e32 v28, v41, v75
	v_add3_u32 v30, 0, v30, v47
	v_add_f32_e32 v14, v15, v14
	v_fma_f32 v15, 0x3dbcf732, v62, -v110
	v_add_f32_e32 v9, v9, v10
	v_add_f32_e32 v12, v27, v26
	v_fma_f32 v27, 0xbf7ba420, v53, -v127
	v_add_f32_e32 v28, v137, v28
	;; [unrolled: 3-line block ×3, first 2 shown]
	v_fma_f32 v9, 0x3dbcf732, v52, -v126
	v_add_f32_e32 v28, v78, v28
	s_delay_alu instid0(VALU_DEP_4) | instskip(SKIP_1) | instid1(VALU_DEP_4)
	v_add_f32_e32 v14, v15, v14
	v_fma_f32 v15, 0xbf1a4643, v66, -v128
	v_add_f32_e32 v26, v40, v9
	s_delay_alu instid0(VALU_DEP_4) | instskip(NEXT) | instid1(VALU_DEP_3)
	v_add_f32_e32 v28, v79, v28
	v_add_f32_e32 v9, v15, v14
	s_delay_alu instid0(VALU_DEP_3)
	v_add_f32_e32 v11, v27, v26
	v_fma_f32 v14, 0xbe8c1d8e, v55, -v121
	v_add_f32_e32 v15, v41, v91
	v_fma_f32 v27, 0x3dbcf732, v53, -v88
	v_add_f32_e32 v28, v138, v28
	v_fmac_f32_e32 v82, 0xbf4c4adb, v63
	v_add_f32_e32 v11, v14, v11
	v_fma_f32 v14, 0x3f6eb680, v57, -v122
	v_add_f32_e32 v15, v92, v15
	s_delay_alu instid0(VALU_DEP_2) | instskip(SKIP_1) | instid1(VALU_DEP_3)
	v_add_f32_e32 v11, v14, v11
	v_fma_f32 v14, 0x3ee437d1, v59, -v123
	v_add_f32_e32 v15, v94, v15
	s_delay_alu instid0(VALU_DEP_2) | instskip(SKIP_1) | instid1(VALU_DEP_3)
	;; [unrolled: 4-line block ×3, first 2 shown]
	v_add_f32_e32 v11, v14, v11
	v_fma_f32 v14, 0xbf1a4643, v64, -v129
	v_add_f32_e32 v26, v98, v15
	v_add_f32_e32 v15, v130, v6
	v_fma_f32 v6, 0x3f3d2fb0, v52, -v89
	s_delay_alu instid0(VALU_DEP_4) | instskip(SKIP_2) | instid1(VALU_DEP_4)
	v_add_f32_e32 v11, v14, v11
	v_fma_f32 v14, 0x3f3d2fb0, v66, -v133
	v_add_f32_e32 v26, v131, v26
	v_add_f32_e32 v6, v40, v6
	s_delay_alu instid0(VALU_DEP_2) | instskip(SKIP_1) | instid1(VALU_DEP_3)
	v_dual_add_f32 v14, v14, v11 :: v_dual_add_f32 v11, v93, v26
	v_fma_f32 v26, 0x3f6eb680, v52, -v69
	v_add_f32_e32 v6, v27, v6
	v_fma_f32 v27, 0xbf1a4643, v55, -v97
	s_delay_alu instid0(VALU_DEP_3) | instskip(SKIP_1) | instid1(VALU_DEP_3)
	v_add_f32_e32 v26, v40, v26
	v_fma_f32 v40, 0xbf7ba420, v66, -v80
	v_add_f32_e32 v6, v27, v6
	v_fma_f32 v27, 0xbf7ba420, v57, -v99
	s_delay_alu instid0(VALU_DEP_4) | instskip(SKIP_1) | instid1(VALU_DEP_3)
	v_add_f32_e32 v26, v29, v26
	v_fma_f32 v29, 0x3ee437d1, v55, -v71
	v_add_f32_e32 v6, v27, v6
	v_fma_f32 v27, 0xbf59a7d5, v59, -v132
	s_delay_alu instid0(VALU_DEP_3) | instskip(SKIP_1) | instid1(VALU_DEP_3)
	v_add_f32_e32 v26, v29, v26
	v_fma_f32 v29, 0x3dbcf732, v57, -v72
	v_add_f32_e32 v6, v27, v6
	v_fma_f32 v27, 0xbe8c1d8e, v62, -v96
	s_delay_alu instid0(VALU_DEP_3) | instskip(SKIP_1) | instid1(VALU_DEP_3)
	;; [unrolled: 5-line block ×3, first 2 shown]
	v_add_f32_e32 v26, v29, v26
	v_fma_f32 v29, 0xbf1a4643, v62, -v73
	v_dual_add_f32 v6, v27, v6 :: v_dual_add_f32 v27, v82, v28
	v_fma_f32 v28, 0xbf59a7d5, v64, -v74
	s_delay_alu instid0(VALU_DEP_3) | instskip(SKIP_1) | instid1(VALU_DEP_4)
	v_add_f32_e32 v26, v29, v26
	v_fma_f32 v29, 0x3f6eb680, v66, -v90
	v_add_f32_e32 v31, v83, v27
	s_delay_alu instid0(VALU_DEP_3) | instskip(NEXT) | instid1(VALU_DEP_3)
	v_dual_add_f32 v27, v87, v11 :: v_dual_add_f32 v28, v28, v26
	v_add_f32_e32 v26, v29, v6
	s_delay_alu instid0(VALU_DEP_2)
	v_dual_add_f32 v29, v81, v31 :: v_dual_add_f32 v28, v40, v28
	ds_store_2addr_b64 v30, v[0:1], v[24:25] offset1:1
	ds_store_2addr_b64 v30, v[76:77], v[84:85] offset0:2 offset1:3
	ds_store_2addr_b64 v30, v[4:5], v[2:3] offset0:4 offset1:5
	;; [unrolled: 1-line block ×7, first 2 shown]
	ds_store_b64 v30, v[28:29] offset:128
.LBB0_14:
	s_wait_alu 0xfffe
	s_or_b32 exec_lo, exec_lo, s1
	v_add_nc_u16 v30, v34, 0x55
	v_and_b32_e32 v0, 0xff, v34
	s_load_b64 s[2:3], s[2:3], 0x0
	global_wb scope:SCOPE_SE
	s_wait_dscnt 0x0
	s_wait_kmcnt 0x0
	s_barrier_signal -1
	v_and_b32_e32 v1, 0xff, v30
	v_mul_lo_u16 v40, 0xf1, v0
	s_barrier_wait -1
	global_inv scope:SCOPE_SE
	v_add_nc_u16 v28, v34, 0xaa
	v_mul_lo_u16 v31, 0xf1, v1
	v_lshrrev_b16 v16, 12, v40
	v_add_nc_u32_e32 v1, 0x1a9, v34
	v_add_nc_u32_e32 v3, 0x1fe, v34
	v_and_b32_e32 v4, 0xff, v28
	v_lshrrev_b16 v66, 12, v31
	v_mul_lo_u16 v6, v16, 17
	v_add_nc_u32_e32 v41, 0x1400, v44
	v_cmp_gt_u32_e64 s0, 0x44, v34
	v_mul_lo_u16 v29, 0xf1, v4
	v_mul_lo_u16 v7, v66, 17
	v_sub_nc_u16 v6, v34, v6
	s_delay_alu instid0(VALU_DEP_3) | instskip(NEXT) | instid1(VALU_DEP_3)
	v_lshrrev_b16 v67, 12, v29
	v_sub_nc_u16 v7, v30, v7
	s_delay_alu instid0(VALU_DEP_3) | instskip(NEXT) | instid1(VALU_DEP_2)
	v_and_b32_e32 v6, 0xff, v6
	v_and_b32_e32 v7, 0xff, v7
	s_delay_alu instid0(VALU_DEP_2) | instskip(NEXT) | instid1(VALU_DEP_2)
	v_lshlrev_b32_e32 v69, 3, v6
	v_lshlrev_b32_e32 v70, 3, v7
	s_clause 0x1
	global_load_b64 v[24:25], v69, s[8:9]
	global_load_b64 v[26:27], v70, s[8:9]
	v_add_nc_u32_e32 v2, 0xff, v34
	s_delay_alu instid0(VALU_DEP_1) | instskip(NEXT) | instid1(VALU_DEP_1)
	v_and_b32_e32 v5, 0xffff, v2
	v_mul_u32_u24_e32 v4, 0xf0f1, v5
	s_delay_alu instid0(VALU_DEP_1) | instskip(SKIP_2) | instid1(VALU_DEP_3)
	v_lshrrev_b32_e32 v68, 20, v4
	v_mul_lo_u16 v4, v67, 17
	v_and_b32_e32 v67, 0xffff, v67
	v_mul_lo_u16 v7, v68, 17
	s_delay_alu instid0(VALU_DEP_3) | instskip(SKIP_1) | instid1(VALU_DEP_4)
	v_sub_nc_u16 v4, v28, v4
	v_mad_u32_u24 v68, 0x110, v68, 0
	v_mad_u32_u24 v67, 0x110, v67, 0
	s_delay_alu instid0(VALU_DEP_4) | instskip(NEXT) | instid1(VALU_DEP_4)
	v_sub_nc_u16 v2, v2, v7
	v_and_b32_e32 v4, 0xff, v4
	s_delay_alu instid0(VALU_DEP_2) | instskip(NEXT) | instid1(VALU_DEP_2)
	v_and_b32_e32 v2, 0xffff, v2
	v_lshlrev_b32_e32 v74, 3, v4
	s_delay_alu instid0(VALU_DEP_2)
	v_lshlrev_b32_e32 v75, 3, v2
	global_load_b64 v[52:53], v74, s[8:9]
	v_add3_u32 v67, v67, v74, v47
	global_load_b64 v[54:55], v75, s[8:9]
	v_add_nc_u32_e32 v0, 0x154, v34
	v_and_b32_e32 v9, 0xffff, v1
	v_and_b32_e32 v10, 0xffff, v3
	s_delay_alu instid0(VALU_DEP_3) | instskip(NEXT) | instid1(VALU_DEP_2)
	v_and_b32_e32 v8, 0xffff, v0
	v_mul_u32_u24_e32 v6, 0xf0f1, v10
	s_delay_alu instid0(VALU_DEP_2) | instskip(SKIP_1) | instid1(VALU_DEP_3)
	v_mul_u32_u24_e32 v5, 0xf0f1, v8
	v_mul_u32_u24_e32 v8, 0xf0f1, v9
	v_lshrrev_b32_e32 v73, 20, v6
	s_delay_alu instid0(VALU_DEP_3) | instskip(NEXT) | instid1(VALU_DEP_3)
	v_lshrrev_b32_e32 v71, 20, v5
	v_lshrrev_b32_e32 v72, 20, v8
	s_delay_alu instid0(VALU_DEP_3) | instskip(SKIP_1) | instid1(VALU_DEP_4)
	v_mul_lo_u16 v7, v73, 17
	v_mad_u32_u24 v73, 0x110, v73, 0
	v_mul_lo_u16 v5, v71, 17
	s_delay_alu instid0(VALU_DEP_4) | instskip(NEXT) | instid1(VALU_DEP_4)
	v_mul_lo_u16 v6, v72, 17
	v_sub_nc_u16 v3, v3, v7
	v_mad_u32_u24 v71, 0x110, v71, 0
	v_mad_u32_u24 v72, 0x110, v72, 0
	v_sub_nc_u16 v0, v0, v5
	v_sub_nc_u16 v1, v1, v6
	v_and_b32_e32 v2, 0xffff, v3
	s_delay_alu instid0(VALU_DEP_3) | instskip(NEXT) | instid1(VALU_DEP_3)
	v_and_b32_e32 v0, 0xffff, v0
	v_and_b32_e32 v1, 0xffff, v1
	s_delay_alu instid0(VALU_DEP_3) | instskip(NEXT) | instid1(VALU_DEP_3)
	v_lshlrev_b32_e32 v78, 3, v2
	v_lshlrev_b32_e32 v76, 3, v0
	s_delay_alu instid0(VALU_DEP_3)
	v_lshlrev_b32_e32 v77, 3, v1
	s_clause 0x2
	global_load_b64 v[56:57], v76, s[8:9]
	global_load_b64 v[58:59], v77, s[8:9]
	;; [unrolled: 1-line block ×3, first 2 shown]
	ds_load_2addr_b64 v[0:3], v50 offset0:83 offset1:168
	ds_load_2addr_b64 v[8:11], v44 offset0:85 offset1:170
	ds_load_2addr_b64 v[12:15], v51 offset0:127 offset1:212
	ds_load_2addr_b64 v[4:7], v48 offset0:167 offset1:252
	v_and_b32_e32 v51, 0xffff, v16
	ds_load_2addr_b64 v[16:19], v49 offset0:169 offset1:254
	ds_load_b64 v[62:63], v43
	ds_load_b64 v[64:65], v44 offset:8840
	ds_load_2addr_b64 v[20:23], v41 offset0:125 offset1:210
	v_and_b32_e32 v66, 0xffff, v66
	global_wb scope:SCOPE_SE
	s_wait_loadcnt_dscnt 0x0
	s_barrier_signal -1
	v_mad_u32_u24 v51, 0x110, v51, 0
	s_barrier_wait -1
	v_mad_u32_u24 v66, 0x110, v66, 0
	global_inv scope:SCOPE_SE
	v_add3_u32 v69, v51, v69, v47
	v_mul_f32_e32 v51, v25, v1
	v_mul_f32_e32 v25, v25, v0
	s_delay_alu instid0(VALU_DEP_2) | instskip(NEXT) | instid1(VALU_DEP_2)
	v_fmac_f32_e32 v51, v24, v0
	v_fma_f32 v0, v24, v1, -v25
	v_mul_f32_e32 v1, v27, v3
	v_mul_f32_e32 v24, v27, v2
	s_delay_alu instid0(VALU_DEP_2) | instskip(NEXT) | instid1(VALU_DEP_2)
	v_fmac_f32_e32 v1, v26, v2
	v_fma_f32 v2, v26, v3, -v24
	s_delay_alu instid0(VALU_DEP_2) | instskip(NEXT) | instid1(VALU_DEP_1)
	v_sub_f32_e32 v24, v8, v1
	v_fma_f32 v8, v8, 2.0, -v24
	v_mul_f32_e32 v27, v53, v21
	v_mul_f32_e32 v25, v53, v20
	v_mul_f32_e32 v53, v55, v23
	v_mul_f32_e32 v55, v55, v22
	v_add3_u32 v66, v66, v70, v47
	v_add3_u32 v70, v71, v76, v47
	v_add3_u32 v71, v72, v77, v47
	v_fmac_f32_e32 v27, v52, v20
	v_add3_u32 v72, v73, v78, v47
	v_fma_f32 v3, v52, v21, -v25
	v_fmac_f32_e32 v53, v54, v22
	v_fma_f32 v52, v54, v23, -v55
	v_dual_sub_f32 v20, v62, v51 :: v_dual_sub_f32 v21, v63, v0
	v_dual_sub_f32 v25, v9, v2 :: v_dual_sub_f32 v26, v10, v27
	v_sub_f32_e32 v27, v11, v3
	s_delay_alu instid0(VALU_DEP_4) | instskip(NEXT) | instid1(VALU_DEP_4)
	v_dual_sub_f32 v51, v12, v53 :: v_dual_sub_f32 v52, v13, v52
	v_fma_f32 v22, v62, 2.0, -v20
	v_fma_f32 v23, v63, 2.0, -v21
	;; [unrolled: 1-line block ×7, first 2 shown]
	v_mul_f32_e32 v73, v5, v57
	v_dual_mul_f32 v57, v4, v57 :: v_dual_mul_f32 v74, v7, v59
	v_mul_f32_e32 v59, v6, v59
	s_delay_alu instid0(VALU_DEP_3) | instskip(NEXT) | instid1(VALU_DEP_3)
	v_fmac_f32_e32 v73, v4, v56
	v_fma_f32 v4, v5, v56, -v57
	s_delay_alu instid0(VALU_DEP_4) | instskip(NEXT) | instid1(VALU_DEP_4)
	v_fmac_f32_e32 v74, v6, v58
	v_fma_f32 v0, v7, v58, -v59
	s_delay_alu instid0(VALU_DEP_3)
	v_dual_sub_f32 v53, v14, v73 :: v_dual_sub_f32 v54, v15, v4
	v_add3_u32 v68, v68, v75, v47
	v_mul_f32_e32 v75, v65, v61
	v_mul_f32_e32 v61, v64, v61
	v_dual_sub_f32 v2, v16, v74 :: v_dual_sub_f32 v3, v17, v0
	v_fma_f32 v14, v14, 2.0, -v53
	s_delay_alu instid0(VALU_DEP_4) | instskip(NEXT) | instid1(VALU_DEP_4)
	v_fmac_f32_e32 v75, v64, v60
	v_fma_f32 v5, v65, v60, -v61
	v_fma_f32 v15, v15, 2.0, -v54
	v_fma_f32 v0, v16, 2.0, -v2
	;; [unrolled: 1-line block ×3, first 2 shown]
	s_delay_alu instid0(VALU_DEP_4) | instskip(NEXT) | instid1(VALU_DEP_1)
	v_dual_sub_f32 v6, v18, v75 :: v_dual_sub_f32 v7, v19, v5
	v_fma_f32 v4, v18, 2.0, -v6
	s_delay_alu instid0(VALU_DEP_2)
	v_fma_f32 v5, v19, 2.0, -v7
	ds_store_2addr_b64 v69, v[22:23], v[20:21] offset1:17
	ds_store_2addr_b64 v66, v[8:9], v[24:25] offset1:17
	;; [unrolled: 1-line block ×7, first 2 shown]
	global_wb scope:SCOPE_SE
	s_wait_dscnt 0x0
	s_barrier_signal -1
	s_barrier_wait -1
	global_inv scope:SCOPE_SE
	ds_load_2addr_b64 v[8:11], v44 offset0:85 offset1:238
	ds_load_2addr_b64 v[12:15], v49 offset0:67 offset1:220
	;; [unrolled: 1-line block ×4, first 2 shown]
	ds_load_b64 v[24:25], v43
	ds_load_b64 v[26:27], v44 offset:8296
	s_and_saveexec_b32 s1, s0
	s_cbranch_execz .LBB0_16
; %bb.15:
	v_add_nc_u32_e32 v0, 0x500, v44
	ds_load_2addr_b64 v[4:7], v41 offset0:6 offset1:244
	ds_load_2addr_b64 v[0:3], v0 offset0:10 offset1:248
	ds_load_b64 v[38:39], v44 offset:8976
.LBB0_16:
	s_wait_alu 0xfffe
	s_or_b32 exec_lo, exec_lo, s1
	v_lshrrev_b16 v40, 13, v40
	v_lshrrev_b16 v31, 13, v31
	s_delay_alu instid0(VALU_DEP_2) | instskip(NEXT) | instid1(VALU_DEP_2)
	v_mul_lo_u16 v41, v40, 34
	v_mul_lo_u16 v48, v31, 34
	v_and_b32_e32 v31, 0xffff, v31
	s_delay_alu instid0(VALU_DEP_3) | instskip(NEXT) | instid1(VALU_DEP_3)
	v_sub_nc_u16 v41, v34, v41
	v_sub_nc_u16 v30, v30, v48
	s_delay_alu instid0(VALU_DEP_3) | instskip(NEXT) | instid1(VALU_DEP_3)
	v_mad_u32_u24 v31, 0x550, v31, 0
	v_and_b32_e32 v41, 0xff, v41
	s_delay_alu instid0(VALU_DEP_1) | instskip(SKIP_3) | instid1(VALU_DEP_2)
	v_lshlrev_b32_e32 v52, 5, v41
	global_load_b128 v[48:51], v52, s[8:9] offset:136
	v_and_b32_e32 v30, 0xff, v30
	v_and_b32_e32 v40, 0xffff, v40
	v_lshlrev_b32_e32 v60, 5, v30
	v_lshlrev_b32_e32 v30, 3, v30
	s_delay_alu instid0(VALU_DEP_3) | instskip(NEXT) | instid1(VALU_DEP_2)
	v_mad_u32_u24 v40, 0x550, v40, 0
	v_add3_u32 v30, v31, v30, v47
	s_wait_loadcnt_dscnt 0x5
	v_mul_f32_e32 v31, v49, v11
	s_clause 0x2
	global_load_b128 v[52:55], v52, s[8:9] offset:152
	global_load_b128 v[56:59], v60, s[8:9] offset:136
	;; [unrolled: 1-line block ×3, first 2 shown]
	global_wb scope:SCOPE_SE
	s_wait_loadcnt_dscnt 0x0
	s_barrier_signal -1
	s_barrier_wait -1
	v_fmac_f32_e32 v31, v48, v10
	global_inv scope:SCOPE_SE
	v_dual_mul_f32 v64, v53, v19 :: v_dual_lshlrev_b32 v41, 3, v41
	v_dual_mul_f32 v65, v55, v23 :: v_dual_mul_f32 v66, v57, v13
	v_mul_f32_e32 v53, v53, v18
	v_dual_mul_f32 v68, v61, v21 :: v_dual_mul_f32 v55, v55, v22
	s_delay_alu instid0(VALU_DEP_4) | instskip(SKIP_1) | instid1(VALU_DEP_3)
	v_fmac_f32_e32 v64, v52, v18
	v_add3_u32 v40, v40, v41, v47
	v_dual_mul_f32 v41, v49, v10 :: v_dual_fmac_f32 v68, v60, v20
	v_mul_f32_e32 v49, v51, v15
	v_mul_f32_e32 v51, v51, v14
	;; [unrolled: 1-line block ×3, first 2 shown]
	s_delay_alu instid0(VALU_DEP_4)
	v_fma_f32 v10, v48, v11, -v41
	v_fma_f32 v23, v54, v23, -v55
	v_fmac_f32_e32 v66, v56, v12
	v_fma_f32 v11, v50, v15, -v51
	v_fma_f32 v15, v52, v19, -v53
	v_fmac_f32_e32 v65, v54, v22
	v_fma_f32 v12, v56, v13, -v57
	v_add_f32_e32 v48, v25, v10
	v_add_f32_e32 v54, v10, v23
	v_dual_sub_f32 v56, v15, v23 :: v_dual_fmac_f32 v49, v50, v14
	v_dual_sub_f32 v22, v64, v65 :: v_dual_mul_f32 v69, v63, v27
	v_add_f32_e32 v50, v11, v15
	v_dual_mul_f32 v67, v59, v17 :: v_dual_add_f32 v14, v24, v31
	v_mul_f32_e32 v59, v59, v16
	v_dual_mul_f32 v61, v61, v20 :: v_dual_add_f32 v20, v31, v65
	v_dual_mul_f32 v63, v63, v26 :: v_dual_sub_f32 v18, v65, v64
	s_delay_alu instid0(VALU_DEP_4) | instskip(NEXT) | instid1(VALU_DEP_3)
	v_fmac_f32_e32 v67, v58, v16
	v_fma_f32 v19, v60, v21, -v61
	v_dual_add_f32 v16, v49, v64 :: v_dual_fmac_f32 v69, v62, v26
	v_sub_f32_e32 v26, v10, v23
	v_fma_f32 v13, v58, v17, -v59
	v_add_f32_e32 v58, v67, v68
	v_fma_f32 v27, v62, v27, -v63
	v_dual_sub_f32 v21, v49, v31 :: v_dual_sub_f32 v70, v67, v66
	v_dual_sub_f32 v17, v31, v49 :: v_dual_sub_f32 v52, v10, v11
	v_sub_f32_e32 v31, v31, v65
	v_dual_sub_f32 v53, v23, v15 :: v_dual_add_f32 v72, v9, v12
	v_dual_add_f32 v57, v8, v66 :: v_dual_sub_f32 v74, v67, v68
	v_dual_add_f32 v63, v66, v69 :: v_dual_sub_f32 v76, v27, v19
	v_dual_add_f32 v73, v13, v19 :: v_dual_add_f32 v14, v14, v49
	v_dual_sub_f32 v41, v11, v15 :: v_dual_sub_f32 v62, v69, v68
	v_dual_sub_f32 v61, v66, v67 :: v_dual_add_f32 v80, v21, v22
	v_add_f32_e32 v77, v12, v27
	v_dual_sub_f32 v51, v49, v64 :: v_dual_sub_f32 v66, v66, v69
	v_dual_sub_f32 v55, v11, v10 :: v_dual_sub_f32 v60, v13, v19
	v_sub_f32_e32 v71, v68, v69
	v_sub_f32_e32 v75, v12, v13
	v_fma_f32 v10, -0.5, v16, v24
	v_add_f32_e32 v49, v17, v18
	v_dual_add_f32 v17, v48, v11 :: v_dual_add_f32 v22, v14, v64
	v_fma_f32 v11, -0.5, v50, v25
	v_dual_sub_f32 v59, v12, v27 :: v_dual_sub_f32 v78, v13, v12
	v_dual_sub_f32 v79, v19, v27 :: v_dual_add_f32 v48, v52, v53
	v_fma_f32 v24, -0.5, v20, v24
	v_dual_fmac_f32 v25, -0.5, v54 :: v_dual_fmamk_f32 v14, v26, 0xbf737871, v10
	v_add_f32_e32 v18, v57, v67
	v_fma_f32 v12, -0.5, v58, v8
	v_fma_f32 v8, -0.5, v63, v8
	v_dual_add_f32 v21, v72, v13 :: v_dual_fmamk_f32 v16, v41, 0x3f737871, v24
	v_fma_f32 v13, -0.5, v73, v9
	v_dual_add_f32 v52, v61, v62 :: v_dual_fmac_f32 v9, -0.5, v77
	v_add_f32_e32 v50, v55, v56
	v_add_f32_e32 v56, v17, v15
	v_dual_add_f32 v53, v70, v71 :: v_dual_fmac_f32 v10, 0x3f737871, v26
	v_fmamk_f32 v15, v31, 0x3f737871, v11
	v_dual_add_f32 v55, v78, v79 :: v_dual_fmac_f32 v24, 0xbf737871, v41
	v_fmamk_f32 v17, v51, 0xbf737871, v25
	v_dual_fmac_f32 v25, 0x3f737871, v51 :: v_dual_fmamk_f32 v20, v60, 0x3f737871, v8
	v_fmac_f32_e32 v11, 0xbf737871, v31
	v_dual_add_f32 v57, v18, v68 :: v_dual_add_f32 v58, v21, v19
	v_fmamk_f32 v18, v59, 0xbf737871, v12
	v_fmac_f32_e32 v8, 0xbf737871, v60
	v_fmamk_f32 v19, v66, 0x3f737871, v13
	v_fmamk_f32 v21, v74, 0xbf737871, v9
	v_dual_fmac_f32 v9, 0x3f737871, v74 :: v_dual_fmac_f32 v12, 0x3f737871, v59
	v_dual_fmac_f32 v13, 0xbf737871, v66 :: v_dual_add_f32 v22, v22, v65
	v_dual_fmac_f32 v14, 0xbf167918, v41 :: v_dual_add_f32 v23, v56, v23
	v_dual_fmac_f32 v10, 0x3f167918, v41 :: v_dual_fmac_f32 v15, 0x3f167918, v51
	v_dual_fmac_f32 v16, 0xbf167918, v26 :: v_dual_fmac_f32 v11, 0xbf167918, v51
	;; [unrolled: 1-line block ×4, first 2 shown]
	v_add_f32_e32 v54, v75, v76
	v_add_f32_e32 v26, v57, v69
	v_dual_fmac_f32 v8, 0x3f167918, v59 :: v_dual_fmac_f32 v19, 0x3f167918, v74
	v_dual_fmac_f32 v20, 0xbf167918, v59 :: v_dual_fmac_f32 v13, 0xbf167918, v74
	v_fmac_f32_e32 v21, 0x3f167918, v66
	v_fmac_f32_e32 v9, 0xbf167918, v66
	v_dual_fmac_f32 v12, 0x3f167918, v60 :: v_dual_add_f32 v27, v58, v27
	v_dual_fmac_f32 v14, 0x3e9e377a, v49 :: v_dual_fmac_f32 v15, 0x3e9e377a, v48
	v_dual_fmac_f32 v16, 0x3e9e377a, v80 :: v_dual_fmac_f32 v17, 0x3e9e377a, v50
	;; [unrolled: 1-line block ×8, first 2 shown]
	ds_store_2addr_b64 v40, v[22:23], v[14:15] offset1:34
	ds_store_2addr_b64 v40, v[16:17], v[24:25] offset0:68 offset1:102
	ds_store_b64 v40, v[10:11] offset:1088
	ds_store_2addr_b64 v30, v[26:27], v[18:19] offset1:34
	ds_store_2addr_b64 v30, v[20:21], v[8:9] offset0:68 offset1:102
	ds_store_b64 v30, v[12:13] offset:1088
	s_and_saveexec_b32 s1, s0
	s_cbranch_execz .LBB0_18
; %bb.17:
	v_lshrrev_b16 v16, 13, v29
	s_delay_alu instid0(VALU_DEP_1) | instskip(NEXT) | instid1(VALU_DEP_1)
	v_mul_lo_u16 v8, v16, 34
	v_sub_nc_u16 v8, v28, v8
	s_delay_alu instid0(VALU_DEP_1) | instskip(NEXT) | instid1(VALU_DEP_1)
	v_and_b32_e32 v17, 0xff, v8
	v_lshlrev_b32_e32 v12, 5, v17
	s_clause 0x1
	global_load_b128 v[8:11], v12, s[8:9] offset:136
	global_load_b128 v[12:15], v12, s[8:9] offset:152
	v_and_b32_e32 v16, 0xffff, v16
	s_wait_loadcnt 0x1
	v_mul_f32_e32 v18, v2, v9
	s_wait_loadcnt 0x0
	v_mul_f32_e32 v21, v6, v13
	v_dual_mul_f32 v20, v38, v15 :: v_dual_lshlrev_b32 v17, 3, v17
	v_mul_f32_e32 v19, v4, v11
	v_mul_f32_e32 v9, v3, v9
	v_fma_f32 v3, v3, v8, -v18
	v_mul_f32_e32 v11, v5, v11
	v_fma_f32 v18, v39, v14, -v20
	v_fma_f32 v5, v5, v10, -v19
	;; [unrolled: 1-line block ×3, first 2 shown]
	v_mul_f32_e32 v13, v7, v13
	v_fmac_f32_e32 v9, v2, v8
	v_mad_u32_u24 v16, 0x550, v16, 0
	v_dual_sub_f32 v2, v3, v5 :: v_dual_fmac_f32 v11, v4, v10
	v_sub_f32_e32 v4, v18, v19
	v_mul_f32_e32 v15, v39, v15
	v_dual_fmac_f32 v13, v6, v12 :: v_dual_sub_f32 v20, v5, v19
	v_add3_u32 v10, v16, v17, v47
	s_delay_alu instid0(VALU_DEP_4) | instskip(NEXT) | instid1(VALU_DEP_4)
	v_add_f32_e32 v28, v2, v4
	v_dual_fmac_f32 v15, v38, v14 :: v_dual_add_f32 v6, v5, v19
	v_dual_sub_f32 v17, v3, v18 :: v_dual_add_f32 v24, v1, v3
	v_dual_sub_f32 v21, v5, v3 :: v_dual_sub_f32 v22, v19, v18
	s_delay_alu instid0(VALU_DEP_3)
	v_sub_f32_e32 v12, v9, v15
	v_add_f32_e32 v16, v11, v13
	v_dual_add_f32 v23, v3, v18 :: v_dual_sub_f32 v26, v13, v15
	v_dual_sub_f32 v8, v11, v13 :: v_dual_sub_f32 v7, v9, v11
	v_sub_f32_e32 v14, v15, v13
	v_sub_f32_e32 v25, v11, v9
	v_add_f32_e32 v27, v9, v15
	v_fma_f32 v3, -0.5, v6, v1
	v_fma_f32 v2, -0.5, v16, v0
	v_dual_add_f32 v14, v7, v14 :: v_dual_add_f32 v9, v0, v9
	v_fma_f32 v1, -0.5, v23, v1
	v_add_f32_e32 v6, v24, v5
	v_fma_f32 v0, -0.5, v27, v0
	v_fmamk_f32 v4, v17, 0xbf737871, v2
	v_add_f32_e32 v9, v9, v11
	v_dual_fmamk_f32 v7, v8, 0x3f737871, v1 :: v_dual_fmac_f32 v2, 0x3f737871, v17
	v_dual_fmamk_f32 v5, v12, 0x3f737871, v3 :: v_dual_add_f32 v16, v21, v22
	v_add_f32_e32 v21, v25, v26
	v_fmac_f32_e32 v3, 0xbf737871, v12
	v_dual_add_f32 v11, v6, v19 :: v_dual_fmac_f32 v4, 0xbf167918, v20
	v_fmamk_f32 v6, v20, 0xbf737871, v0
	v_dual_fmac_f32 v0, 0x3f737871, v20 :: v_dual_add_f32 v13, v9, v13
	v_fmac_f32_e32 v2, 0x3f167918, v20
	v_fmac_f32_e32 v1, 0xbf737871, v8
	s_delay_alu instid0(VALU_DEP_4) | instskip(NEXT) | instid1(VALU_DEP_4)
	v_dual_fmac_f32 v5, 0x3f167918, v8 :: v_dual_fmac_f32 v6, 0x3f167918, v17
	v_dual_fmac_f32 v7, 0xbf167918, v12 :: v_dual_fmac_f32 v0, 0xbf167918, v17
	v_dual_fmac_f32 v3, 0xbf167918, v8 :: v_dual_add_f32 v8, v13, v15
	s_delay_alu instid0(VALU_DEP_4) | instskip(NEXT) | instid1(VALU_DEP_4)
	v_fmac_f32_e32 v1, 0x3f167918, v12
	v_dual_add_f32 v9, v11, v18 :: v_dual_fmac_f32 v6, 0x3e9e377a, v21
	v_dual_fmac_f32 v5, 0x3e9e377a, v28 :: v_dual_fmac_f32 v4, 0x3e9e377a, v14
	v_dual_fmac_f32 v7, 0x3e9e377a, v16 :: v_dual_fmac_f32 v0, 0x3e9e377a, v21
	s_delay_alu instid0(VALU_DEP_4)
	v_dual_fmac_f32 v1, 0x3e9e377a, v16 :: v_dual_fmac_f32 v2, 0x3e9e377a, v14
	v_fmac_f32_e32 v3, 0x3e9e377a, v28
	ds_store_2addr_b64 v10, v[8:9], v[4:5] offset1:34
	ds_store_2addr_b64 v10, v[0:1], v[6:7] offset0:68 offset1:102
	ds_store_b64 v10, v[2:3] offset:1088
.LBB0_18:
	s_wait_alu 0xfffe
	s_or_b32 exec_lo, exec_lo, s1
	v_mul_u32_u24_e32 v0, 6, v34
	global_wb scope:SCOPE_SE
	s_wait_dscnt 0x0
	s_barrier_signal -1
	s_barrier_wait -1
	global_inv scope:SCOPE_SE
	v_lshlrev_b32_e32 v20, 3, v0
	v_lshl_add_u32 v63, v45, 3, v46
	s_mov_b32 s1, exec_lo
	s_clause 0x5
	global_load_b128 v[0:3], v20, s[8:9] offset:1224
	global_load_b128 v[4:7], v20, s[8:9] offset:1240
	;; [unrolled: 1-line block ×6, first 2 shown]
	v_add_nc_u32_e32 v61, 0x400, v44
	ds_load_2addr_b64 v[24:27], v44 offset0:85 offset1:170
	v_add_nc_u32_e32 v38, 0x800, v44
	v_add_nc_u32_e32 v47, 0x1000, v44
	;; [unrolled: 1-line block ×3, first 2 shown]
	ds_load_2addr_b64 v[28:31], v61 offset0:127 offset1:212
	s_wait_loadcnt_dscnt 0x501
	v_dual_mul_f32 v67, v1, v27 :: v_dual_add_nc_u32 v62, 0x1800, v44
	v_mul_f32_e32 v1, v1, v26
	ds_load_2addr_b64 v[38:41], v38 offset0:169 offset1:254
	ds_load_2addr_b64 v[47:50], v47 offset0:83 offset1:168
	s_wait_dscnt 0x2
	v_mul_f32_e32 v68, v3, v31
	v_mul_f32_e32 v3, v3, v30
	ds_load_2addr_b64 v[51:54], v51 offset0:125 offset1:210
	ds_load_2addr_b64 v[55:58], v62 offset0:167 offset1:252
	ds_load_b64 v[45:46], v43
	ds_load_b64 v[59:60], v44 offset:8840
	v_add_nc_u32_e32 v64, 0xe00, v44
	v_add_nc_u32_e32 v66, 0x1000, v63
	v_dual_fmac_f32 v68, v2, v30 :: v_dual_add_nc_u32 v65, 0x600, v63
	v_fmac_f32_e32 v67, v0, v26
	v_fma_f32 v0, v0, v27, -v1
	v_fma_f32 v1, v2, v31, -v3
	global_wb scope:SCOPE_SE
	s_wait_loadcnt_dscnt 0x0
	s_barrier_signal -1
	s_barrier_wait -1
	global_inv scope:SCOPE_SE
	v_mul_f32_e32 v69, v5, v41
	v_dual_mul_f32 v5, v5, v40 :: v_dual_mul_f32 v70, v7, v50
	v_dual_mul_f32 v7, v7, v49 :: v_dual_mul_f32 v76, v52, v19
	;; [unrolled: 1-line block ×3, first 2 shown]
	v_mul_f32_e32 v72, v58, v11
	v_mul_f32_e32 v11, v57, v11
	v_dual_fmac_f32 v70, v6, v49 :: v_dual_add_nc_u32 v63, 0x1c00, v63
	v_dual_mul_f32 v9, v9, v53 :: v_dual_mul_f32 v78, v60, v23
	v_dual_mul_f32 v73, v29, v13 :: v_dual_fmac_f32 v76, v51, v18
	v_dual_mul_f32 v13, v28, v13 :: v_dual_fmac_f32 v72, v57, v10
	v_fma_f32 v2, v4, v41, -v5
	v_fma_f32 v3, v6, v50, -v7
	v_fmac_f32_e32 v69, v4, v40
	v_dual_mul_f32 v23, v59, v23 :: v_dual_fmac_f32 v74, v38, v14
	v_fma_f32 v5, v58, v10, -v11
	v_mul_f32_e32 v19, v51, v19
	v_fma_f32 v4, v8, v54, -v9
	v_fma_f32 v6, v29, v12, -v13
	v_dual_mul_f32 v15, v38, v15 :: v_dual_fmac_f32 v78, v59, v22
	v_add_f32_e32 v13, v0, v5
	v_sub_f32_e32 v0, v0, v5
	v_fma_f32 v9, v52, v18, -v19
	v_sub_f32_e32 v18, v70, v69
	v_fma_f32 v11, v60, v22, -v23
	v_fma_f32 v7, v39, v14, -v15
	s_delay_alu instid0(VALU_DEP_2) | instskip(SKIP_2) | instid1(VALU_DEP_2)
	v_add_f32_e32 v19, v6, v11
	v_dual_sub_f32 v6, v6, v11 :: v_dual_mul_f32 v77, v56, v21
	v_dual_sub_f32 v14, v67, v72 :: v_dual_mul_f32 v75, v48, v17
	v_fmac_f32_e32 v77, v55, v20
	v_fmac_f32_e32 v73, v28, v12
	v_add_f32_e32 v12, v67, v72
	s_delay_alu instid0(VALU_DEP_3) | instskip(SKIP_2) | instid1(VALU_DEP_1)
	v_dual_fmac_f32 v75, v47, v16 :: v_dual_sub_f32 v22, v74, v77
	v_fmac_f32_e32 v71, v8, v53
	v_mul_f32_e32 v17, v47, v17
	v_fma_f32 v8, v48, v16, -v17
	v_dual_add_f32 v17, v2, v3 :: v_dual_sub_f32 v2, v3, v2
	v_mul_f32_e32 v21, v55, v21
	v_add_f32_e32 v15, v1, v4
	v_sub_f32_e32 v1, v1, v4
	v_dual_add_f32 v4, v69, v70 :: v_dual_add_f32 v23, v8, v9
	s_delay_alu instid0(VALU_DEP_4) | instskip(SKIP_2) | instid1(VALU_DEP_3)
	v_fma_f32 v10, v56, v20, -v21
	v_dual_sub_f32 v20, v73, v78 :: v_dual_add_f32 v5, v68, v71
	v_sub_f32_e32 v8, v9, v8
	v_dual_sub_f32 v16, v68, v71 :: v_dual_add_f32 v21, v7, v10
	v_sub_f32_e32 v7, v7, v10
	v_add_f32_e32 v3, v73, v78
	v_sub_f32_e32 v28, v5, v12
	s_delay_alu instid0(VALU_DEP_4) | instskip(NEXT) | instid1(VALU_DEP_4)
	v_sub_f32_e32 v38, v18, v16
	v_dual_add_f32 v9, v5, v12 :: v_dual_add_f32 v50, v8, v7
	v_sub_f32_e32 v12, v12, v4
	v_dual_add_f32 v30, v18, v16 :: v_dual_sub_f32 v5, v4, v5
	v_sub_f32_e32 v18, v14, v18
	v_add_f32_e32 v10, v75, v76
	v_sub_f32_e32 v26, v76, v75
	v_sub_f32_e32 v16, v16, v14
	v_add_f32_e32 v14, v30, v14
	v_dual_add_f32 v31, v2, v1 :: v_dual_mul_f32 v12, 0x3f4a47b2, v12
	v_dual_sub_f32 v39, v2, v1 :: v_dual_sub_f32 v2, v0, v2
	v_dual_add_f32 v27, v15, v13 :: v_dual_sub_f32 v52, v8, v7
	v_sub_f32_e32 v29, v15, v13
	v_dual_sub_f32 v15, v17, v15 :: v_dual_add_f32 v4, v4, v9
	v_sub_f32_e32 v13, v13, v17
	v_dual_sub_f32 v40, v1, v0 :: v_dual_add_f32 v11, v74, v77
	v_dual_sub_f32 v48, v21, v19 :: v_dual_add_f32 v49, v26, v22
	v_add_f32_e32 v9, v17, v27
	v_add_f32_e32 v17, v31, v0
	v_mul_f32_e32 v27, 0x3d64c772, v5
	v_dual_add_f32 v0, v4, v45 :: v_dual_add_f32 v1, v11, v3
	v_sub_f32_e32 v47, v11, v3
	v_sub_f32_e32 v51, v26, v22
	;; [unrolled: 1-line block ×3, first 2 shown]
	s_delay_alu instid0(VALU_DEP_4)
	v_fmamk_f32 v4, v4, 0xbf955555, v0
	v_sub_f32_e32 v22, v22, v20
	v_dual_mul_f32 v30, 0x3d64c772, v15 :: v_dual_sub_f32 v3, v3, v10
	v_add_f32_e32 v20, v49, v20
	v_add_f32_e32 v41, v21, v19
	v_fmamk_f32 v5, v5, 0x3d64c772, v12
	v_fma_f32 v27, 0x3f3bfb3b, v28, -v27
	v_mul_f32_e32 v31, 0x3f08b237, v38
	v_fma_f32 v12, 0xbf3bfb3b, v28, -v12
	v_dual_sub_f32 v11, v10, v11 :: v_dual_mul_f32 v52, 0x3f08b237, v52
	v_dual_sub_f32 v8, v6, v8 :: v_dual_sub_f32 v21, v23, v21
	v_dual_mul_f32 v54, 0xbf5ff5aa, v22 :: v_dual_sub_f32 v19, v19, v23
	v_dual_sub_f32 v7, v7, v6 :: v_dual_fmamk_f32 v28, v18, 0xbeae86e6, v31
	v_mul_f32_e32 v38, 0x3f08b237, v39
	v_add_f32_e32 v10, v10, v1
	v_add_f32_e32 v23, v23, v41
	v_dual_mul_f32 v41, 0x3f4a47b2, v3 :: v_dual_add_f32 v12, v12, v4
	v_mul_f32_e32 v51, 0x3f08b237, v51
	v_mul_f32_e32 v39, 0xbf5ff5aa, v16
	v_dual_mul_f32 v53, 0xbf5ff5aa, v40 :: v_dual_add_f32 v6, v50, v6
	v_fma_f32 v16, 0xbf5ff5aa, v16, -v31
	v_fma_f32 v31, 0xbf5ff5aa, v40, -v38
	v_fmamk_f32 v40, v26, 0xbeae86e6, v51
	v_fma_f32 v45, 0xbf5ff5aa, v7, -v52
	v_fma_f32 v26, 0x3eae86e6, v26, -v54
	v_mul_f32_e32 v13, 0x3f4a47b2, v13
	v_fma_f32 v18, 0x3eae86e6, v18, -v39
	v_fma_f32 v39, 0xbf3bfb3b, v47, -v41
	v_mul_f32_e32 v49, 0x3d64c772, v11
	v_fmamk_f32 v11, v11, 0x3d64c772, v41
	v_dual_fmac_f32 v45, 0xbee1c552, v6 :: v_dual_fmac_f32 v26, 0xbee1c552, v20
	v_fmamk_f32 v41, v8, 0xbeae86e6, v52
	v_fmamk_f32 v15, v15, 0x3d64c772, v13
	v_fma_f32 v30, 0x3f3bfb3b, v29, -v30
	v_fma_f32 v13, 0xbf3bfb3b, v29, -v13
	v_fmac_f32_e32 v28, 0xbee1c552, v14
	v_fmac_f32_e32 v41, 0xbee1c552, v6
	v_fmamk_f32 v29, v2, 0xbeae86e6, v38
	v_fma_f32 v38, 0x3eae86e6, v2, -v53
	v_dual_add_f32 v2, v10, v24 :: v_dual_add_f32 v1, v9, v46
	v_dual_add_f32 v3, v23, v25 :: v_dual_fmac_f32 v16, 0xbee1c552, v14
	v_dual_fmac_f32 v31, 0xbee1c552, v17 :: v_dual_fmac_f32 v40, 0xbee1c552, v20
	v_mul_f32_e32 v55, 0xbf5ff5aa, v7
	v_fmac_f32_e32 v38, 0xbee1c552, v17
	v_fma_f32 v24, 0x3f3bfb3b, v47, -v49
	v_fmamk_f32 v7, v9, 0xbf955555, v1
	ds_store_2addr_b64 v44, v[0:1], v[2:3] offset1:85
	v_fma_f32 v46, 0x3eae86e6, v8, -v55
	v_fmamk_f32 v8, v10, 0xbf955555, v2
	v_add_f32_e32 v2, v38, v12
	v_fma_f32 v22, 0xbf5ff5aa, v22, -v51
	v_mul_f32_e32 v50, 0x3d64c772, v21
	v_mul_f32_e32 v19, 0x3f4a47b2, v19
	v_fmac_f32_e32 v46, 0xbee1c552, v6
	v_fmac_f32_e32 v18, 0xbee1c552, v14
	;; [unrolled: 1-line block ×3, first 2 shown]
	v_add_f32_e32 v20, v24, v8
	v_add_f32_e32 v24, v39, v8
	v_fmamk_f32 v9, v23, 0xbf955555, v3
	v_dual_add_f32 v23, v11, v8 :: v_dual_sub_f32 v8, v12, v38
	v_add_f32_e32 v10, v5, v4
	v_fmamk_f32 v21, v21, 0x3d64c772, v19
	v_fma_f32 v25, 0x3f3bfb3b, v48, -v50
	s_delay_alu instid0(VALU_DEP_4) | instskip(SKIP_2) | instid1(VALU_DEP_3)
	v_dual_add_f32 v12, v41, v23 :: v_dual_fmac_f32 v29, 0xbee1c552, v17
	v_fma_f32 v19, 0xbf3bfb3b, v48, -v19
	v_dual_add_f32 v6, v27, v4 :: v_dual_add_f32 v13, v13, v7
	v_add_f32_e32 v0, v29, v10
	v_sub_f32_e32 v10, v10, v29
	v_add_f32_e32 v14, v15, v7
	v_add_f32_e32 v15, v30, v7
	v_sub_f32_e32 v4, v6, v31
	s_delay_alu instid0(VALU_DEP_3) | instskip(NEXT) | instid1(VALU_DEP_3)
	v_dual_add_f32 v6, v31, v6 :: v_dual_sub_f32 v1, v14, v28
	v_add_f32_e32 v5, v16, v15
	v_dual_sub_f32 v7, v15, v16 :: v_dual_sub_f32 v16, v20, v45
	v_add_f32_e32 v27, v21, v9
	v_add_f32_e32 v21, v25, v9
	;; [unrolled: 1-line block ×3, first 2 shown]
	v_dual_add_f32 v11, v28, v14 :: v_dual_add_f32 v14, v46, v24
	s_delay_alu instid0(VALU_DEP_3)
	v_add_f32_e32 v17, v22, v21
	v_dual_sub_f32 v19, v21, v22 :: v_dual_sub_f32 v22, v23, v41
	v_sub_f32_e32 v3, v13, v18
	v_add_f32_e32 v9, v18, v13
	v_sub_f32_e32 v13, v27, v40
	v_sub_f32_e32 v15, v25, v26
	v_add_f32_e32 v18, v45, v20
	v_dual_sub_f32 v20, v24, v46 :: v_dual_add_f32 v21, v26, v25
	v_add_f32_e32 v23, v40, v27
	ds_store_2addr_b64 v61, v[0:1], v[2:3] offset0:42 offset1:212
	ds_store_2addr_b64 v64, v[4:5], v[6:7] offset0:62 offset1:232
	;; [unrolled: 1-line block ×6, first 2 shown]
	global_wb scope:SCOPE_SE
	s_wait_dscnt 0x0
	s_barrier_signal -1
	s_barrier_wait -1
	global_inv scope:SCOPE_SE
	ds_load_b64 v[2:3], v43
	v_sub_nc_u32_e32 v6, v42, v35
                                        ; implicit-def: $vgpr0
                                        ; implicit-def: $vgpr7
                                        ; implicit-def: $vgpr8
                                        ; implicit-def: $vgpr4_vgpr5
	v_cmpx_ne_u32_e32 0, v34
	s_wait_alu 0xfffe
	s_xor_b32 s1, exec_lo, s1
	s_cbranch_execz .LBB0_20
; %bb.19:
	ds_load_b64 v[4:5], v6 offset:9520
	s_wait_dscnt 0x0
	v_dual_mov_b32 v35, 0 :: v_dual_add_f32 v8, v5, v3
	s_delay_alu instid0(VALU_DEP_1) | instskip(SKIP_2) | instid1(VALU_DEP_2)
	v_lshlrev_b64_e32 v[0:1], 3, v[34:35]
	v_dual_sub_f32 v7, v2, v4 :: v_dual_add_f32 v2, v4, v2
	v_sub_f32_e32 v3, v3, v5
	v_mul_f32_e32 v5, 0.5, v7
	s_delay_alu instid0(VALU_DEP_4)
	v_add_co_u32 v0, s0, s8, v0
	s_wait_alu 0xf1ff
	v_add_co_ci_u32_e64 v1, s0, s9, v1, s0
	v_mul_f32_e32 v3, 0.5, v3
	global_load_b64 v[0:1], v[0:1], off offset:9384
	s_wait_loadcnt 0x0
	v_dual_mul_f32 v9, 0.5, v8 :: v_dual_mul_f32 v4, v1, v5
	s_delay_alu instid0(VALU_DEP_1) | instskip(SKIP_1) | instid1(VALU_DEP_3)
	v_fma_f32 v8, v9, v1, v3
	v_fma_f32 v1, v9, v1, -v3
	v_fma_f32 v7, 0.5, v2, v4
	v_fma_f32 v2, v2, 0.5, -v4
	s_delay_alu instid0(VALU_DEP_4) | instskip(NEXT) | instid1(VALU_DEP_4)
	v_fma_f32 v8, -v0, v5, v8
	v_fma_f32 v1, -v0, v5, v1
	s_delay_alu instid0(VALU_DEP_4) | instskip(NEXT) | instid1(VALU_DEP_4)
	v_dual_mov_b32 v4, v34 :: v_dual_fmac_f32 v7, v0, v9
	v_fma_f32 v0, -v0, v9, v2
	v_mov_b32_e32 v5, v35
                                        ; implicit-def: $vgpr2_vgpr3
.LBB0_20:
	s_wait_alu 0xfffe
	s_and_not1_saveexec_b32 s0, s1
	s_cbranch_execz .LBB0_22
; %bb.21:
	ds_load_b32 v1, v42 offset:4764
	s_wait_dscnt 0x1
	v_dual_add_f32 v7, v2, v3 :: v_dual_mov_b32 v4, 0
	v_dual_sub_f32 v0, v2, v3 :: v_dual_mov_b32 v5, 0
	v_mov_b32_e32 v8, 0
	s_wait_dscnt 0x0
	v_xor_b32_e32 v2, 0x80000000, v1
	v_mov_b32_e32 v1, 0
	ds_store_b32 v42, v2 offset:4764
.LBB0_22:
	s_wait_alu 0xfffe
	s_or_b32 exec_lo, exec_lo, s0
	s_wait_dscnt 0x0
	v_lshlrev_b64_e32 v[2:3], 3, v[4:5]
	s_add_nc_u64 s[0:1], s[8:9], 0x24a8
	s_wait_alu 0xfffe
	s_delay_alu instid0(VALU_DEP_1) | instskip(SKIP_1) | instid1(VALU_DEP_2)
	v_add_co_u32 v2, s0, s0, v2
	s_wait_alu 0xf1ff
	v_add_co_ci_u32_e64 v3, s0, s1, v3, s0
	s_clause 0x5
	global_load_b64 v[4:5], v[2:3], off offset:680
	global_load_b64 v[9:10], v[2:3], off offset:1360
	;; [unrolled: 1-line block ×6, first 2 shown]
	ds_store_2addr_b32 v43, v7, v8 offset1:1
	ds_store_b64 v6, v[0:1] offset:9520
	ds_load_b64 v[0:1], v43 offset:680
	ds_load_b64 v[7:8], v6 offset:8840
	s_wait_dscnt 0x0
	v_dual_sub_f32 v17, v0, v7 :: v_dual_add_f32 v18, v1, v8
	v_dual_sub_f32 v1, v1, v8 :: v_dual_add_f32 v0, v0, v7
	s_delay_alu instid0(VALU_DEP_2) | instskip(NEXT) | instid1(VALU_DEP_2)
	v_dual_mul_f32 v8, 0.5, v17 :: v_dual_mul_f32 v17, 0.5, v18
	v_mul_f32_e32 v1, 0.5, v1
	s_wait_loadcnt 0x5
	s_delay_alu instid0(VALU_DEP_2) | instskip(NEXT) | instid1(VALU_DEP_2)
	v_mul_f32_e32 v7, v5, v8
	v_fma_f32 v18, v17, v5, v1
	v_fma_f32 v1, v17, v5, -v1
	s_delay_alu instid0(VALU_DEP_3) | instskip(SKIP_1) | instid1(VALU_DEP_4)
	v_fma_f32 v5, 0.5, v0, v7
	v_fma_f32 v0, v0, 0.5, -v7
	v_fma_f32 v7, -v4, v8, v18
	s_delay_alu instid0(VALU_DEP_4) | instskip(NEXT) | instid1(VALU_DEP_4)
	v_fma_f32 v1, -v4, v8, v1
	v_fmac_f32_e32 v5, v4, v17
	s_delay_alu instid0(VALU_DEP_4)
	v_fma_f32 v0, -v4, v17, v0
	v_add_nc_u32_e32 v17, 0x400, v43
	ds_store_2addr_b32 v43, v5, v7 offset0:170 offset1:171
	ds_store_b64 v6, v[0:1] offset:8840
	ds_load_b64 v[0:1], v43 offset:1360
	ds_load_b64 v[4:5], v6 offset:8160
	s_wait_dscnt 0x0
	v_dual_sub_f32 v7, v0, v4 :: v_dual_add_f32 v8, v1, v5
	v_dual_sub_f32 v1, v1, v5 :: v_dual_add_f32 v0, v0, v4
	s_delay_alu instid0(VALU_DEP_2) | instskip(NEXT) | instid1(VALU_DEP_3)
	v_mul_f32_e32 v5, 0.5, v7
	v_mul_f32_e32 v7, 0.5, v8
	s_delay_alu instid0(VALU_DEP_3) | instskip(SKIP_1) | instid1(VALU_DEP_3)
	v_mul_f32_e32 v1, 0.5, v1
	s_wait_loadcnt 0x4
	v_mul_f32_e32 v4, v10, v5
	s_delay_alu instid0(VALU_DEP_2) | instskip(SKIP_1) | instid1(VALU_DEP_3)
	v_fma_f32 v8, v7, v10, v1
	v_fma_f32 v1, v7, v10, -v1
	v_fma_f32 v10, 0.5, v0, v4
	v_fma_f32 v0, v0, 0.5, -v4
	s_delay_alu instid0(VALU_DEP_4) | instskip(NEXT) | instid1(VALU_DEP_4)
	v_fma_f32 v4, -v9, v5, v8
	v_fma_f32 v1, -v9, v5, v1
	s_delay_alu instid0(VALU_DEP_4) | instskip(NEXT) | instid1(VALU_DEP_4)
	v_fmac_f32_e32 v10, v9, v7
	v_fma_f32 v0, -v9, v7, v0
	ds_store_2addr_b32 v17, v10, v4 offset0:84 offset1:85
	ds_store_b64 v6, v[0:1] offset:8160
	ds_load_b64 v[0:1], v43 offset:2040
	ds_load_b64 v[4:5], v6 offset:7480
	s_wait_dscnt 0x0
	v_dual_sub_f32 v7, v0, v4 :: v_dual_add_nc_u32 v10, 0xc00, v43
	v_add_f32_e32 v8, v1, v5
	v_dual_sub_f32 v1, v1, v5 :: v_dual_add_f32 v0, v0, v4
	s_delay_alu instid0(VALU_DEP_3) | instskip(NEXT) | instid1(VALU_DEP_3)
	v_mul_f32_e32 v5, 0.5, v7
	v_mul_f32_e32 v7, 0.5, v8
	s_delay_alu instid0(VALU_DEP_3) | instskip(SKIP_1) | instid1(VALU_DEP_3)
	v_mul_f32_e32 v1, 0.5, v1
	s_wait_loadcnt 0x3
	v_mul_f32_e32 v4, v12, v5
	s_delay_alu instid0(VALU_DEP_2) | instskip(SKIP_1) | instid1(VALU_DEP_3)
	v_fma_f32 v8, v7, v12, v1
	v_fma_f32 v1, v7, v12, -v1
	v_fma_f32 v9, 0.5, v0, v4
	v_fma_f32 v0, v0, 0.5, -v4
	s_delay_alu instid0(VALU_DEP_4) | instskip(NEXT) | instid1(VALU_DEP_4)
	v_fma_f32 v4, -v11, v5, v8
	v_fma_f32 v1, -v11, v5, v1
	s_delay_alu instid0(VALU_DEP_4) | instskip(NEXT) | instid1(VALU_DEP_4)
	v_fmac_f32_e32 v9, v11, v7
	v_fma_f32 v0, -v11, v7, v0
	ds_store_2addr_b32 v17, v9, v4 offset0:254 offset1:255
	ds_store_b64 v6, v[0:1] offset:7480
	ds_load_b64 v[0:1], v43 offset:2720
	ds_load_b64 v[4:5], v6 offset:6800
	s_wait_dscnt 0x0
	v_dual_sub_f32 v7, v0, v4 :: v_dual_add_f32 v8, v1, v5
	v_dual_sub_f32 v1, v1, v5 :: v_dual_add_f32 v0, v0, v4
	s_delay_alu instid0(VALU_DEP_2) | instskip(NEXT) | instid1(VALU_DEP_3)
	v_mul_f32_e32 v5, 0.5, v7
	v_mul_f32_e32 v7, 0.5, v8
	s_delay_alu instid0(VALU_DEP_3) | instskip(SKIP_1) | instid1(VALU_DEP_3)
	v_mul_f32_e32 v1, 0.5, v1
	s_wait_loadcnt 0x2
	v_mul_f32_e32 v4, v14, v5
	s_delay_alu instid0(VALU_DEP_2) | instskip(SKIP_1) | instid1(VALU_DEP_3)
	v_fma_f32 v8, v7, v14, v1
	v_fma_f32 v1, v7, v14, -v1
	v_fma_f32 v9, 0.5, v0, v4
	v_fma_f32 v0, v0, 0.5, -v4
	v_add_nc_u32_e32 v4, 0x800, v43
	v_fma_f32 v8, -v13, v5, v8
	v_fma_f32 v1, -v13, v5, v1
	v_fmac_f32_e32 v9, v13, v7
	v_fma_f32 v0, -v13, v7, v0
	ds_store_2addr_b32 v4, v9, v8 offset0:168 offset1:169
	ds_store_b64 v6, v[0:1] offset:6800
	ds_load_b64 v[0:1], v43 offset:3400
	ds_load_b64 v[4:5], v6 offset:6120
	s_wait_dscnt 0x0
	v_dual_sub_f32 v7, v0, v4 :: v_dual_add_f32 v8, v1, v5
	v_dual_sub_f32 v1, v1, v5 :: v_dual_add_f32 v0, v0, v4
	s_delay_alu instid0(VALU_DEP_2) | instskip(NEXT) | instid1(VALU_DEP_3)
	v_mul_f32_e32 v5, 0.5, v7
	v_mul_f32_e32 v7, 0.5, v8
	s_delay_alu instid0(VALU_DEP_3) | instskip(SKIP_1) | instid1(VALU_DEP_3)
	v_mul_f32_e32 v1, 0.5, v1
	s_wait_loadcnt 0x1
	v_mul_f32_e32 v4, v16, v5
	s_delay_alu instid0(VALU_DEP_2) | instskip(SKIP_1) | instid1(VALU_DEP_3)
	v_fma_f32 v8, v7, v16, v1
	v_fma_f32 v1, v7, v16, -v1
	v_fma_f32 v9, 0.5, v0, v4
	v_fma_f32 v0, v0, 0.5, -v4
	s_delay_alu instid0(VALU_DEP_4) | instskip(NEXT) | instid1(VALU_DEP_4)
	v_fma_f32 v4, -v15, v5, v8
	v_fma_f32 v1, -v15, v5, v1
	s_delay_alu instid0(VALU_DEP_4) | instskip(NEXT) | instid1(VALU_DEP_4)
	v_fmac_f32_e32 v9, v15, v7
	v_fma_f32 v0, -v15, v7, v0
	ds_store_2addr_b32 v10, v9, v4 offset0:82 offset1:83
	ds_store_b64 v6, v[0:1] offset:6120
	ds_load_b64 v[0:1], v43 offset:4080
	ds_load_b64 v[4:5], v6 offset:5440
	s_wait_dscnt 0x0
	v_dual_sub_f32 v7, v0, v4 :: v_dual_add_f32 v8, v1, v5
	v_dual_sub_f32 v1, v1, v5 :: v_dual_add_f32 v0, v0, v4
	s_delay_alu instid0(VALU_DEP_2) | instskip(NEXT) | instid1(VALU_DEP_3)
	v_mul_f32_e32 v5, 0.5, v7
	v_mul_f32_e32 v7, 0.5, v8
	s_delay_alu instid0(VALU_DEP_3) | instskip(SKIP_1) | instid1(VALU_DEP_3)
	v_mul_f32_e32 v1, 0.5, v1
	s_wait_loadcnt 0x0
	v_mul_f32_e32 v4, v3, v5
	s_delay_alu instid0(VALU_DEP_2) | instskip(SKIP_1) | instid1(VALU_DEP_3)
	v_fma_f32 v8, v7, v3, v1
	v_fma_f32 v1, v7, v3, -v1
	v_fma_f32 v3, 0.5, v0, v4
	v_fma_f32 v0, v0, 0.5, -v4
	s_delay_alu instid0(VALU_DEP_4) | instskip(NEXT) | instid1(VALU_DEP_4)
	v_fma_f32 v4, -v2, v5, v8
	v_fma_f32 v1, -v2, v5, v1
	s_delay_alu instid0(VALU_DEP_4) | instskip(NEXT) | instid1(VALU_DEP_4)
	v_fmac_f32_e32 v3, v2, v7
	v_fma_f32 v0, -v2, v7, v0
	ds_store_2addr_b32 v10, v3, v4 offset0:252 offset1:253
	ds_store_b64 v6, v[0:1] offset:5440
	global_wb scope:SCOPE_SE
	s_wait_dscnt 0x0
	s_barrier_signal -1
	s_barrier_wait -1
	global_inv scope:SCOPE_SE
	s_and_saveexec_b32 s0, vcc_lo
	s_cbranch_execz .LBB0_25
; %bb.23:
	v_mul_lo_u32 v3, s3, v36
	v_mul_lo_u32 v4, s2, v37
	v_mad_co_u64_u32 v[0:1], null, s2, v36, 0
	v_mov_b32_e32 v35, 0
	v_lshlrev_b64_e32 v[11:12], 3, v[32:33]
	v_lshl_add_u32 v2, v34, 3, v42
	v_add_nc_u32_e32 v15, 0xaa, v34
	s_delay_alu instid0(VALU_DEP_4)
	v_dual_mov_b32 v14, v35 :: v_dual_add_nc_u32 v13, 0x55, v34
	v_add3_u32 v1, v1, v4, v3
	v_lshlrev_b64_e32 v[17:18], 3, v[34:35]
	v_mov_b32_e32 v16, v35
	ds_load_2addr_b64 v[3:6], v2 offset1:85
	ds_load_2addr_b64 v[7:10], v2 offset0:170 offset1:255
	v_lshlrev_b64_e32 v[0:1], 3, v[0:1]
	v_lshlrev_b64_e32 v[13:14], 3, v[13:14]
	v_dual_mov_b32 v20, v35 :: v_dual_add_nc_u32 v19, 0x154, v34
	v_add_nc_u32_e32 v21, 0x800, v2
	v_add_nc_u32_e32 v23, 0x1000, v2
	v_add_co_u32 v0, vcc_lo, s6, v0
	s_wait_alu 0xfffd
	v_add_co_ci_u32_e32 v1, vcc_lo, s7, v1, vcc_lo
	v_add_nc_u32_e32 v25, 0x1c00, v2
	s_delay_alu instid0(VALU_DEP_3) | instskip(SKIP_1) | instid1(VALU_DEP_3)
	v_add_co_u32 v0, vcc_lo, v0, v11
	s_wait_alu 0xfffd
	v_add_co_ci_u32_e32 v1, vcc_lo, v1, v12, vcc_lo
	v_lshlrev_b64_e32 v[11:12], 3, v[15:16]
	s_delay_alu instid0(VALU_DEP_3) | instskip(SKIP_1) | instid1(VALU_DEP_3)
	v_add_co_u32 v15, vcc_lo, v0, v17
	s_wait_alu 0xfffd
	v_add_co_ci_u32_e32 v16, vcc_lo, v1, v18, vcc_lo
	v_dual_mov_b32 v18, v35 :: v_dual_add_nc_u32 v17, 0xff, v34
	v_add_co_u32 v13, vcc_lo, v0, v13
	s_wait_alu 0xfffd
	v_add_co_ci_u32_e32 v14, vcc_lo, v1, v14, vcc_lo
	s_delay_alu instid0(VALU_DEP_3) | instskip(SKIP_4) | instid1(VALU_DEP_4)
	v_lshlrev_b64_e32 v[17:18], 3, v[17:18]
	v_add_co_u32 v11, vcc_lo, v0, v11
	s_wait_alu 0xfffd
	v_add_co_ci_u32_e32 v12, vcc_lo, v1, v12, vcc_lo
	v_mov_b32_e32 v22, v35
	v_add_co_u32 v17, vcc_lo, v0, v17
	s_wait_alu 0xfffd
	v_add_co_ci_u32_e32 v18, vcc_lo, v1, v18, vcc_lo
	s_wait_dscnt 0x1
	s_clause 0x1
	global_store_b64 v[15:16], v[3:4], off
	global_store_b64 v[13:14], v[5:6], off
	s_wait_dscnt 0x0
	s_clause 0x1
	global_store_b64 v[11:12], v[7:8], off
	global_store_b64 v[17:18], v[9:10], off
	v_lshlrev_b64_e32 v[7:8], 3, v[19:20]
	v_dual_mov_b32 v12, v35 :: v_dual_add_nc_u32 v9, 0x1a9, v34
	v_dual_mov_b32 v10, v35 :: v_dual_add_nc_u32 v17, 0xc00, v2
	ds_load_2addr_b64 v[3:6], v21 offset0:84 offset1:169
	v_add_co_u32 v13, vcc_lo, v0, v7
	v_dual_mov_b32 v18, v35 :: v_dual_add_nc_u32 v11, 0x1fe, v34
	s_wait_alu 0xfffd
	v_add_co_ci_u32_e32 v14, vcc_lo, v1, v8, vcc_lo
	v_lshlrev_b64_e32 v[15:16], 3, v[9:10]
	ds_load_2addr_b64 v[7:10], v17 offset0:126 offset1:211
	v_add_nc_u32_e32 v17, 0x253, v34
	v_lshlrev_b64_e32 v[11:12], 3, v[11:12]
	v_add_nc_u32_e32 v19, 0x2a8, v34
	v_dual_mov_b32 v26, v35 :: v_dual_add_nc_u32 v21, 0x2fd, v34
	v_add_co_u32 v15, vcc_lo, v0, v15
	v_lshlrev_b64_e32 v[17:18], 3, v[17:18]
	s_wait_alu 0xfffd
	v_add_co_ci_u32_e32 v16, vcc_lo, v1, v16, vcc_lo
	v_add_co_u32 v11, vcc_lo, v0, v11
	s_wait_alu 0xfffd
	v_add_co_ci_u32_e32 v12, vcc_lo, v1, v12, vcc_lo
	v_add_co_u32 v17, vcc_lo, v0, v17
	s_wait_alu 0xfffd
	v_add_co_ci_u32_e32 v18, vcc_lo, v1, v18, vcc_lo
	s_wait_dscnt 0x1
	s_clause 0x1
	global_store_b64 v[13:14], v[3:4], off
	global_store_b64 v[15:16], v[5:6], off
	s_wait_dscnt 0x0
	s_clause 0x1
	global_store_b64 v[11:12], v[7:8], off
	global_store_b64 v[17:18], v[9:10], off
	v_mov_b32_e32 v14, v35
	v_lshlrev_b64_e32 v[19:20], 3, v[19:20]
	v_dual_mov_b32 v12, v35 :: v_dual_add_nc_u32 v11, 0x352, v34
	v_lshlrev_b64_e32 v[7:8], 3, v[21:22]
	v_add_nc_u32_e32 v13, 0x3a7, v34
	v_add_nc_u32_e32 v9, 0x1800, v2
	v_add_co_u32 v15, vcc_lo, v0, v19
	v_lshlrev_b64_e32 v[11:12], 3, v[11:12]
	s_wait_alu 0xfffd
	v_add_co_ci_u32_e32 v16, vcc_lo, v1, v20, vcc_lo
	v_add_co_u32 v17, vcc_lo, v0, v7
	s_wait_alu 0xfffd
	v_add_co_ci_u32_e32 v18, vcc_lo, v1, v8, vcc_lo
	v_dual_mov_b32 v20, v35 :: v_dual_add_nc_u32 v19, 0x3fc, v34
	v_add_co_u32 v21, vcc_lo, v0, v11
	ds_load_2addr_b64 v[3:6], v23 offset0:168 offset1:253
	v_lshlrev_b64_e32 v[23:24], 3, v[13:14]
	s_wait_alu 0xfffd
	v_add_co_ci_u32_e32 v22, vcc_lo, v1, v12, vcc_lo
	ds_load_2addr_b64 v[11:14], v25 offset0:124 offset1:209
	v_add_nc_u32_e32 v25, 0x451, v34
	ds_load_2addr_b64 v[7:10], v9 offset0:82 offset1:167
	v_lshlrev_b64_e32 v[19:20], 3, v[19:20]
	v_add_co_u32 v23, vcc_lo, v0, v23
	v_lshlrev_b64_e32 v[25:26], 3, v[25:26]
	s_wait_alu 0xfffd
	v_add_co_ci_u32_e32 v24, vcc_lo, v1, v24, vcc_lo
	s_delay_alu instid0(VALU_DEP_4)
	v_add_co_u32 v19, vcc_lo, v0, v19
	s_wait_alu 0xfffd
	v_add_co_ci_u32_e32 v20, vcc_lo, v1, v20, vcc_lo
	v_add_co_u32 v25, vcc_lo, v0, v25
	s_wait_alu 0xfffd
	v_add_co_ci_u32_e32 v26, vcc_lo, v1, v26, vcc_lo
	v_cmp_eq_u32_e32 vcc_lo, 0x54, v34
	s_wait_dscnt 0x2
	s_clause 0x1
	global_store_b64 v[15:16], v[3:4], off
	global_store_b64 v[17:18], v[5:6], off
	s_wait_dscnt 0x0
	s_clause 0x3
	global_store_b64 v[21:22], v[7:8], off
	global_store_b64 v[23:24], v[9:10], off
	;; [unrolled: 1-line block ×4, first 2 shown]
	s_and_b32 exec_lo, exec_lo, vcc_lo
	s_cbranch_execz .LBB0_25
; %bb.24:
	ds_load_b64 v[2:3], v2 offset:8848
	s_wait_dscnt 0x0
	global_store_b64 v[0:1], v[2:3], off offset:9520
.LBB0_25:
	s_nop 0
	s_sendmsg sendmsg(MSG_DEALLOC_VGPRS)
	s_endpgm
	.section	.rodata,"a",@progbits
	.p2align	6, 0x0
	.amdhsa_kernel fft_rtc_back_len1190_factors_17_2_5_7_wgs_255_tpt_85_halfLds_sp_op_CI_CI_unitstride_sbrr_R2C_dirReg
		.amdhsa_group_segment_fixed_size 0
		.amdhsa_private_segment_fixed_size 0
		.amdhsa_kernarg_size 104
		.amdhsa_user_sgpr_count 2
		.amdhsa_user_sgpr_dispatch_ptr 0
		.amdhsa_user_sgpr_queue_ptr 0
		.amdhsa_user_sgpr_kernarg_segment_ptr 1
		.amdhsa_user_sgpr_dispatch_id 0
		.amdhsa_user_sgpr_private_segment_size 0
		.amdhsa_wavefront_size32 1
		.amdhsa_uses_dynamic_stack 0
		.amdhsa_enable_private_segment 0
		.amdhsa_system_sgpr_workgroup_id_x 1
		.amdhsa_system_sgpr_workgroup_id_y 0
		.amdhsa_system_sgpr_workgroup_id_z 0
		.amdhsa_system_sgpr_workgroup_info 0
		.amdhsa_system_vgpr_workitem_id 0
		.amdhsa_next_free_vgpr 141
		.amdhsa_next_free_sgpr 39
		.amdhsa_reserve_vcc 1
		.amdhsa_float_round_mode_32 0
		.amdhsa_float_round_mode_16_64 0
		.amdhsa_float_denorm_mode_32 3
		.amdhsa_float_denorm_mode_16_64 3
		.amdhsa_fp16_overflow 0
		.amdhsa_workgroup_processor_mode 1
		.amdhsa_memory_ordered 1
		.amdhsa_forward_progress 0
		.amdhsa_round_robin_scheduling 0
		.amdhsa_exception_fp_ieee_invalid_op 0
		.amdhsa_exception_fp_denorm_src 0
		.amdhsa_exception_fp_ieee_div_zero 0
		.amdhsa_exception_fp_ieee_overflow 0
		.amdhsa_exception_fp_ieee_underflow 0
		.amdhsa_exception_fp_ieee_inexact 0
		.amdhsa_exception_int_div_zero 0
	.end_amdhsa_kernel
	.text
.Lfunc_end0:
	.size	fft_rtc_back_len1190_factors_17_2_5_7_wgs_255_tpt_85_halfLds_sp_op_CI_CI_unitstride_sbrr_R2C_dirReg, .Lfunc_end0-fft_rtc_back_len1190_factors_17_2_5_7_wgs_255_tpt_85_halfLds_sp_op_CI_CI_unitstride_sbrr_R2C_dirReg
                                        ; -- End function
	.section	.AMDGPU.csdata,"",@progbits
; Kernel info:
; codeLenInByte = 14348
; NumSgprs: 41
; NumVgprs: 141
; ScratchSize: 0
; MemoryBound: 0
; FloatMode: 240
; IeeeMode: 1
; LDSByteSize: 0 bytes/workgroup (compile time only)
; SGPRBlocks: 5
; VGPRBlocks: 17
; NumSGPRsForWavesPerEU: 41
; NumVGPRsForWavesPerEU: 141
; Occupancy: 10
; WaveLimiterHint : 1
; COMPUTE_PGM_RSRC2:SCRATCH_EN: 0
; COMPUTE_PGM_RSRC2:USER_SGPR: 2
; COMPUTE_PGM_RSRC2:TRAP_HANDLER: 0
; COMPUTE_PGM_RSRC2:TGID_X_EN: 1
; COMPUTE_PGM_RSRC2:TGID_Y_EN: 0
; COMPUTE_PGM_RSRC2:TGID_Z_EN: 0
; COMPUTE_PGM_RSRC2:TIDIG_COMP_CNT: 0
	.text
	.p2alignl 7, 3214868480
	.fill 96, 4, 3214868480
	.type	__hip_cuid_d05a01fa65dd5db5,@object ; @__hip_cuid_d05a01fa65dd5db5
	.section	.bss,"aw",@nobits
	.globl	__hip_cuid_d05a01fa65dd5db5
__hip_cuid_d05a01fa65dd5db5:
	.byte	0                               ; 0x0
	.size	__hip_cuid_d05a01fa65dd5db5, 1

	.ident	"AMD clang version 19.0.0git (https://github.com/RadeonOpenCompute/llvm-project roc-6.4.0 25133 c7fe45cf4b819c5991fe208aaa96edf142730f1d)"
	.section	".note.GNU-stack","",@progbits
	.addrsig
	.addrsig_sym __hip_cuid_d05a01fa65dd5db5
	.amdgpu_metadata
---
amdhsa.kernels:
  - .args:
      - .actual_access:  read_only
        .address_space:  global
        .offset:         0
        .size:           8
        .value_kind:     global_buffer
      - .offset:         8
        .size:           8
        .value_kind:     by_value
      - .actual_access:  read_only
        .address_space:  global
        .offset:         16
        .size:           8
        .value_kind:     global_buffer
      - .actual_access:  read_only
        .address_space:  global
        .offset:         24
        .size:           8
        .value_kind:     global_buffer
      - .actual_access:  read_only
        .address_space:  global
        .offset:         32
        .size:           8
        .value_kind:     global_buffer
      - .offset:         40
        .size:           8
        .value_kind:     by_value
      - .actual_access:  read_only
        .address_space:  global
        .offset:         48
        .size:           8
        .value_kind:     global_buffer
      - .actual_access:  read_only
        .address_space:  global
        .offset:         56
        .size:           8
        .value_kind:     global_buffer
      - .offset:         64
        .size:           4
        .value_kind:     by_value
      - .actual_access:  read_only
        .address_space:  global
        .offset:         72
        .size:           8
        .value_kind:     global_buffer
      - .actual_access:  read_only
        .address_space:  global
        .offset:         80
        .size:           8
        .value_kind:     global_buffer
      - .actual_access:  read_only
        .address_space:  global
        .offset:         88
        .size:           8
        .value_kind:     global_buffer
      - .actual_access:  write_only
        .address_space:  global
        .offset:         96
        .size:           8
        .value_kind:     global_buffer
    .group_segment_fixed_size: 0
    .kernarg_segment_align: 8
    .kernarg_segment_size: 104
    .language:       OpenCL C
    .language_version:
      - 2
      - 0
    .max_flat_workgroup_size: 255
    .name:           fft_rtc_back_len1190_factors_17_2_5_7_wgs_255_tpt_85_halfLds_sp_op_CI_CI_unitstride_sbrr_R2C_dirReg
    .private_segment_fixed_size: 0
    .sgpr_count:     41
    .sgpr_spill_count: 0
    .symbol:         fft_rtc_back_len1190_factors_17_2_5_7_wgs_255_tpt_85_halfLds_sp_op_CI_CI_unitstride_sbrr_R2C_dirReg.kd
    .uniform_work_group_size: 1
    .uses_dynamic_stack: false
    .vgpr_count:     141
    .vgpr_spill_count: 0
    .wavefront_size: 32
    .workgroup_processor_mode: 1
amdhsa.target:   amdgcn-amd-amdhsa--gfx1201
amdhsa.version:
  - 1
  - 2
...

	.end_amdgpu_metadata
